;; amdgpu-corpus repo=ROCm/rocFFT kind=compiled arch=gfx906 opt=O3
	.text
	.amdgcn_target "amdgcn-amd-amdhsa--gfx906"
	.amdhsa_code_object_version 6
	.protected	bluestein_single_back_len1274_dim1_half_op_CI_CI ; -- Begin function bluestein_single_back_len1274_dim1_half_op_CI_CI
	.globl	bluestein_single_back_len1274_dim1_half_op_CI_CI
	.p2align	8
	.type	bluestein_single_back_len1274_dim1_half_op_CI_CI,@function
bluestein_single_back_len1274_dim1_half_op_CI_CI: ; @bluestein_single_back_len1274_dim1_half_op_CI_CI
; %bb.0:
	s_load_dwordx4 s[12:15], s[4:5], 0x28
	v_mul_u32_u24_e32 v1, 0x169, v0
	v_add_u32_sdwa v22, s6, v1 dst_sel:DWORD dst_unused:UNUSED_PAD src0_sel:DWORD src1_sel:WORD_1
	v_mov_b32_e32 v23, 0
	s_waitcnt lgkmcnt(0)
	v_cmp_gt_u64_e32 vcc, s[12:13], v[22:23]
	s_and_saveexec_b64 s[0:1], vcc
	s_cbranch_execz .LBB0_23
; %bb.1:
	s_load_dwordx4 s[0:3], s[4:5], 0x18
	s_load_dwordx2 s[16:17], s[4:5], 0x0
	s_waitcnt lgkmcnt(0)
	v_mov_b32_e32 v8, s17
	s_load_dwordx4 s[8:11], s[0:1], 0x0
	s_movk_i32 s0, 0xb6
	v_mul_lo_u16_sdwa v1, v1, s0 dst_sel:DWORD dst_unused:UNUSED_PAD src0_sel:WORD_1 src1_sel:DWORD
	v_sub_u16_e32 v47, v0, v1
	v_lshlrev_b32_e32 v41, 2, v47
	s_waitcnt lgkmcnt(0)
	v_mad_u64_u32 v[0:1], s[0:1], s10, v22, 0
	v_mad_u64_u32 v[2:3], s[0:1], s8, v47, 0
	global_load_dword v48, v41, s[16:17]
	v_add_co_u32_e64 v20, s[6:7], s16, v41
	v_mad_u64_u32 v[4:5], s[0:1], s11, v22, v[1:2]
	v_mad_u64_u32 v[5:6], s[0:1], s9, v47, v[3:4]
	v_mov_b32_e32 v1, v4
	v_lshlrev_b64 v[0:1], 2, v[0:1]
	v_mov_b32_e32 v6, s15
	v_mov_b32_e32 v3, v5
	v_add_co_u32_e32 v4, vcc, s14, v0
	v_addc_co_u32_e32 v5, vcc, v6, v1, vcc
	v_lshlrev_b64 v[0:1], 2, v[2:3]
	s_mul_i32 s0, s9, 0x27d
	s_mul_hi_u32 s1, s8, 0x27d
	s_add_i32 s1, s1, s0
	s_mul_i32 s0, s8, 0x27d
	v_add_co_u32_e32 v0, vcc, v4, v0
	s_lshl_b64 s[14:15], s[0:1], 2
	s_mul_hi_u32 s1, s8, 0xfffffe39
	v_addc_co_u32_e32 v1, vcc, v5, v1, vcc
	s_mul_i32 s0, s9, 0xfffffe39
	s_sub_i32 s1, s1, s8
	v_mov_b32_e32 v4, s15
	v_add_co_u32_e32 v2, vcc, s14, v0
	s_add_i32 s1, s1, s0
	s_mul_i32 s0, s8, 0xfffffe39
	v_addc_co_u32_e32 v3, vcc, v1, v4, vcc
	s_lshl_b64 s[18:19], s[0:1], 2
	global_load_dword v5, v[0:1], off
	global_load_dword v6, v[2:3], off
	global_load_dword v46, v41, s[16:17] offset:2548
	v_mov_b32_e32 v7, s19
	v_add_co_u32_e32 v0, vcc, s18, v2
	v_addc_co_u32_e32 v1, vcc, v3, v7, vcc
	global_load_dword v2, v[0:1], off
	global_load_dword v45, v41, s[16:17] offset:728
	v_add_co_u32_e32 v0, vcc, s14, v0
	v_addc_co_u32_e32 v1, vcc, v1, v4, vcc
	global_load_dword v3, v[0:1], off
	global_load_dword v44, v41, s[16:17] offset:3276
	;; [unrolled: 4-line block ×3, first 2 shown]
	global_load_dword v43, v41, s[16:17] offset:1456
	v_add_co_u32_e32 v0, vcc, s14, v0
	v_addc_co_u32_e32 v1, vcc, v1, v4, vcc
	global_load_dword v4, v[0:1], off
	v_addc_co_u32_e64 v21, vcc, 0, v8, s[6:7]
	s_load_dwordx2 s[12:13], s[4:5], 0x38
	s_load_dwordx4 s[8:11], s[2:3], 0x0
	s_movk_i32 s0, 0x5b
	v_cmp_gt_u16_e64 s[0:1], s0, v47
	s_waitcnt vmcnt(10)
	v_lshrrev_b32_e32 v8, 16, v5
	v_mul_f16_sdwa v9, v48, v5 dst_sel:DWORD dst_unused:UNUSED_PAD src0_sel:WORD_1 src1_sel:DWORD
	v_mul_f16_sdwa v10, v48, v8 dst_sel:DWORD dst_unused:UNUSED_PAD src0_sel:WORD_1 src1_sel:DWORD
	v_fma_f16 v8, v48, v8, -v9
	s_waitcnt vmcnt(9)
	v_lshrrev_b32_e32 v9, 16, v6
	s_waitcnt vmcnt(8)
	v_mul_f16_sdwa v11, v46, v6 dst_sel:DWORD dst_unused:UNUSED_PAD src0_sel:WORD_1 src1_sel:DWORD
	v_fma_f16 v5, v48, v5, v10
	v_mul_f16_sdwa v10, v46, v9 dst_sel:DWORD dst_unused:UNUSED_PAD src0_sel:WORD_1 src1_sel:DWORD
	v_fma_f16 v9, v46, v9, -v11
	s_waitcnt vmcnt(7)
	v_lshrrev_b32_e32 v11, 16, v2
	s_waitcnt vmcnt(6)
	v_mul_f16_sdwa v12, v45, v2 dst_sel:DWORD dst_unused:UNUSED_PAD src0_sel:WORD_1 src1_sel:DWORD
	v_pack_b32_f16 v5, v5, v8
	v_mul_f16_sdwa v8, v45, v11 dst_sel:DWORD dst_unused:UNUSED_PAD src0_sel:WORD_1 src1_sel:DWORD
	v_fma_f16 v6, v46, v6, v10
	v_fma_f16 v10, v45, v11, -v12
	s_waitcnt vmcnt(5)
	v_lshrrev_b32_e32 v11, 16, v3
	s_waitcnt vmcnt(4)
	v_mul_f16_sdwa v12, v44, v3 dst_sel:DWORD dst_unused:UNUSED_PAD src0_sel:WORD_1 src1_sel:DWORD
	v_fma_f16 v2, v45, v2, v8
	v_pack_b32_f16 v6, v6, v9
	v_mul_f16_sdwa v8, v44, v11 dst_sel:DWORD dst_unused:UNUSED_PAD src0_sel:WORD_1 src1_sel:DWORD
	v_fma_f16 v9, v44, v11, -v12
	s_waitcnt vmcnt(3)
	v_lshrrev_b32_e32 v11, 16, v7
	v_pack_b32_f16 v2, v2, v10
	ds_write_b32 v41, v6 offset:2548
	v_fma_f16 v3, v44, v3, v8
	s_waitcnt vmcnt(1)
	v_mul_f16_sdwa v6, v43, v11 dst_sel:DWORD dst_unused:UNUSED_PAD src0_sel:WORD_1 src1_sel:DWORD
	ds_write2_b32 v41, v5, v2 offset1:182
	v_mul_f16_sdwa v5, v43, v7 dst_sel:DWORD dst_unused:UNUSED_PAD src0_sel:WORD_1 src1_sel:DWORD
	v_pack_b32_f16 v2, v3, v9
	v_fma_f16 v3, v43, v7, v6
	v_fma_f16 v5, v43, v11, -v5
	v_pack_b32_f16 v3, v3, v5
	ds_write_b32 v41, v3 offset:1456
	s_waitcnt vmcnt(0)
	v_lshrrev_b32_e32 v3, 16, v4
	v_mul_f16_sdwa v5, v42, v3 dst_sel:DWORD dst_unused:UNUSED_PAD src0_sel:WORD_1 src1_sel:DWORD
	v_fma_f16 v5, v42, v4, v5
	v_mul_f16_sdwa v4, v42, v4 dst_sel:DWORD dst_unused:UNUSED_PAD src0_sel:WORD_1 src1_sel:DWORD
	v_fma_f16 v3, v42, v3, -v4
	v_pack_b32_f16 v3, v5, v3
	v_add_u32_e32 v4, 0xc00, v41
	ds_write2_b32 v4, v2, v3 offset0:51 offset1:233
	s_and_saveexec_b64 s[2:3], s[0:1]
	s_cbranch_execz .LBB0_3
; %bb.2:
	v_mov_b32_e32 v2, s19
	v_add_co_u32_e32 v0, vcc, s18, v0
	v_addc_co_u32_e32 v1, vcc, v1, v2, vcc
	global_load_dword v2, v[0:1], off
	global_load_dword v3, v[20:21], off offset:2184
	v_mov_b32_e32 v4, s15
	v_add_co_u32_e32 v0, vcc, s14, v0
	v_addc_co_u32_e32 v1, vcc, v1, v4, vcc
	global_load_dword v4, v[0:1], off
	v_add_co_u32_e32 v0, vcc, 0x1000, v20
	v_addc_co_u32_e32 v1, vcc, 0, v21, vcc
	global_load_dword v0, v[0:1], off offset:636
	s_waitcnt vmcnt(3)
	v_lshrrev_b32_e32 v1, 16, v2
	s_waitcnt vmcnt(2)
	v_mul_f16_sdwa v5, v3, v2 dst_sel:DWORD dst_unused:UNUSED_PAD src0_sel:WORD_1 src1_sel:DWORD
	v_mul_f16_sdwa v6, v3, v1 dst_sel:DWORD dst_unused:UNUSED_PAD src0_sel:WORD_1 src1_sel:DWORD
	v_fma_f16 v1, v3, v1, -v5
	v_fma_f16 v2, v3, v2, v6
	v_pack_b32_f16 v1, v2, v1
	ds_write_b32 v41, v1 offset:2184
	s_waitcnt vmcnt(1)
	v_lshrrev_b32_e32 v5, 16, v4
	s_waitcnt vmcnt(0)
	v_mul_f16_sdwa v7, v0, v4 dst_sel:DWORD dst_unused:UNUSED_PAD src0_sel:WORD_1 src1_sel:DWORD
	v_mul_f16_sdwa v3, v0, v5 dst_sel:DWORD dst_unused:UNUSED_PAD src0_sel:WORD_1 src1_sel:DWORD
	v_fma_f16 v5, v0, v5, -v7
	v_fma_f16 v0, v0, v4, v3
	v_pack_b32_f16 v0, v0, v5
	ds_write_b32 v41, v0 offset:4732
.LBB0_3:
	s_or_b64 exec, exec, s[2:3]
	v_add_u32_e32 v2, 0x900, v41
	s_waitcnt lgkmcnt(0)
	s_barrier
	ds_read2_b32 v[0:1], v41 offset1:182
	ds_read2_b32 v[2:3], v2 offset0:61 offset1:243
	ds_read_b32 v4, v41 offset:1456
	ds_read_b32 v5, v41 offset:4004
                                        ; implicit-def: $vgpr6
                                        ; implicit-def: $vgpr7
	s_and_saveexec_b64 s[2:3], s[0:1]
	s_cbranch_execz .LBB0_5
; %bb.4:
	ds_read_b32 v6, v41 offset:2184
	ds_read_b32 v7, v41 offset:4732
.LBB0_5:
	s_or_b64 exec, exec, s[2:3]
	s_load_dwordx2 s[4:5], s[4:5], 0x8
	v_lshlrev_b32_e32 v34, 3, v47
	v_add_co_u32_e32 v8, vcc, 0x222, v47
	s_waitcnt lgkmcnt(0)
	v_pk_add_f16 v13, v0, v2 neg_lo:[0,1] neg_hi:[0,1]
	v_pk_add_f16 v15, v1, v3 neg_lo:[0,1] neg_hi:[0,1]
	;; [unrolled: 1-line block ×4, first 2 shown]
	v_lshlrev_b16_e32 v2, 1, v47
	v_pk_fma_f16 v18, v6, 2.0, v19 op_sel_hi:[1,0,1] neg_lo:[0,0,1] neg_hi:[0,0,1]
	v_lshlrev_b32_e32 v35, 2, v2
	v_pk_fma_f16 v12, v0, 2.0, v13 op_sel_hi:[1,0,1] neg_lo:[0,0,1] neg_hi:[0,0,1]
	v_pk_fma_f16 v14, v1, 2.0, v15 op_sel_hi:[1,0,1] neg_lo:[0,0,1] neg_hi:[0,0,1]
	;; [unrolled: 1-line block ×3, first 2 shown]
	v_add_u32_e32 v0, 0x400, v34
	v_lshlrev_b32_e32 v50, 3, v8
	s_barrier
	ds_write_b64 v35, v[12:13]
	ds_write2_b64 v0, v[14:15], v[16:17] offset0:54 offset1:236
	s_and_saveexec_b64 s[2:3], s[0:1]
	s_cbranch_execz .LBB0_7
; %bb.6:
	ds_write_b64 v50, v[18:19]
.LBB0_7:
	s_or_b64 exec, exec, s[2:3]
	s_movk_i32 s2, 0x62
	v_cmp_gt_u16_e64 s[2:3], s2, v47
	v_lshrrev_b32_e32 v27, 16, v14
	v_lshrrev_b32_e32 v28, 16, v16
	;; [unrolled: 1-line block ×3, first 2 shown]
	s_waitcnt lgkmcnt(0)
	s_barrier
	s_waitcnt lgkmcnt(0)
                                        ; implicit-def: $vgpr23
                                        ; implicit-def: $vgpr30
                                        ; implicit-def: $vgpr31
                                        ; implicit-def: $vgpr25
                                        ; implicit-def: $vgpr37
                                        ; implicit-def: $vgpr51
                                        ; implicit-def: $vgpr32
                                        ; implicit-def: $vgpr53
	s_and_saveexec_b64 s[14:15], s[2:3]
	s_cbranch_execz .LBB0_9
; %bb.8:
	v_add_u32_e32 v0, 0x200, v41
	v_add_u32_e32 v1, 0xc00, v41
	ds_read2_b32 v[14:15], v0 offset0:68 offset1:166
	v_add_u32_e32 v0, 0x400, v41
	ds_read2_b32 v[23:24], v1 offset0:16 offset1:114
	v_add_u32_e32 v1, 0xe00, v41
	ds_read2_b32 v[12:13], v41 offset1:98
	ds_read2_b32 v[16:17], v0 offset0:136 offset1:234
	v_add_u32_e32 v0, 0x800, v41
	ds_read2_b32 v[25:26], v1 offset0:84 offset1:182
	ds_read2_b32 v[18:19], v0 offset0:76 offset1:174
	ds_read_b32 v32, v41 offset:4704
	s_waitcnt lgkmcnt(6)
	v_lshrrev_b32_e32 v27, 16, v14
	s_waitcnt lgkmcnt(4)
	v_lshrrev_b32_e32 v29, 16, v12
	;; [unrolled: 2-line block ×3, first 2 shown]
	v_lshrrev_b32_e32 v30, 16, v23
	v_lshrrev_b32_e32 v31, 16, v24
	s_waitcnt lgkmcnt(2)
	v_lshrrev_b32_e32 v37, 16, v25
	v_lshrrev_b32_e32 v51, 16, v26
	s_waitcnt lgkmcnt(0)
	v_lshrrev_b32_e32 v53, 16, v32
.LBB0_9:
	s_or_b64 exec, exec, s[14:15]
	v_and_b32_e32 v49, 1, v47
	v_mul_u32_u24_e32 v0, 12, v49
	v_lshlrev_b32_e32 v33, 2, v0
	global_load_dwordx4 v[4:7], v33, s[4:5]
	global_load_dwordx4 v[0:3], v33, s[4:5] offset:16
	global_load_dwordx4 v[8:11], v33, s[4:5] offset:32
	v_lshrrev_b32_e32 v54, 16, v15
	v_lshrrev_b32_e32 v58, 16, v13
	;; [unrolled: 1-line block ×5, first 2 shown]
	s_movk_i32 s14, 0x388b
	s_mov_b32 s15, 0xb5ac
	s_movk_i32 s16, 0x2fb7
	s_mov_b32 s18, 0xbbc4
	s_mov_b32 s19, 0xb9fd
	s_movk_i32 s20, 0x3b15
	s_waitcnt vmcnt(0)
	s_barrier
	v_mul_f16_sdwa v36, v54, v6 dst_sel:DWORD dst_unused:UNUSED_PAD src0_sel:DWORD src1_sel:WORD_1
	v_mul_f16_sdwa v64, v15, v6 dst_sel:DWORD dst_unused:UNUSED_PAD src0_sel:DWORD src1_sel:WORD_1
	;; [unrolled: 1-line block ×16, first 2 shown]
	v_fma_f16 v36, v15, v6, -v36
	v_fma_f16 v38, v16, v7, -v38
	v_fma_f16 v15, v54, v6, v64
	v_fma_f16 v16, v28, v7, v65
	v_fma_f16 v64, v32, v11, -v73
	v_fma_f16 v32, v53, v11, v74
	v_fma_f16 v65, v58, v4, v75
	v_mul_f16_sdwa v40, v56, v1 dst_sel:DWORD dst_unused:UNUSED_PAD src0_sel:DWORD src1_sel:WORD_1
	v_mul_f16_sdwa v67, v18, v1 dst_sel:DWORD dst_unused:UNUSED_PAD src0_sel:DWORD src1_sel:WORD_1
	v_mul_f16_sdwa v62, v37, v9 dst_sel:DWORD dst_unused:UNUSED_PAD src0_sel:DWORD src1_sel:WORD_1
	v_mul_f16_sdwa v63, v51, v10 dst_sel:DWORD dst_unused:UNUSED_PAD src0_sel:DWORD src1_sel:WORD_1
	v_fma_f16 v33, v14, v5, -v33
	v_fma_f16 v60, v23, v3, -v60
	;; [unrolled: 1-line block ×3, first 2 shown]
	v_fma_f16 v14, v27, v5, v59
	v_fma_f16 v23, v30, v3, v69
	;; [unrolled: 1-line block ×5, first 2 shown]
	v_fma_f16 v13, v13, v4, -v76
	v_sub_f16_e32 v37, v65, v32
	v_mul_f16_sdwa v39, v55, v0 dst_sel:DWORD dst_unused:UNUSED_PAD src0_sel:DWORD src1_sel:WORD_1
	v_mul_f16_sdwa v66, v17, v0 dst_sel:DWORD dst_unused:UNUSED_PAD src0_sel:DWORD src1_sel:WORD_1
	v_fma_f16 v40, v18, v1, -v40
	v_fma_f16 v63, v26, v10, -v63
	v_fma_f16 v18, v56, v1, v67
	v_add_f16_e32 v83, v13, v64
	v_sub_f16_e32 v51, v14, v31
	v_mul_f16_e32 v67, 0xba95, v37
	v_mul_f16_sdwa v52, v57, v2 dst_sel:DWORD dst_unused:UNUSED_PAD src0_sel:DWORD src1_sel:WORD_1
	v_mul_f16_sdwa v68, v19, v2 dst_sel:DWORD dst_unused:UNUSED_PAD src0_sel:DWORD src1_sel:WORD_1
	v_fma_f16 v39, v17, v0, -v39
	v_fma_f16 v62, v25, v9, -v62
	v_fma_f16 v17, v55, v0, v66
	v_add_f16_e32 v79, v33, v63
	v_sub_f16_e32 v53, v15, v30
	v_mul_f16_e32 v66, 0xbb7b, v51
	v_mul_f16_e32 v72, 0xbbf1, v37
	v_fma_f16 v25, v83, s14, v67
	v_fma_f16 v52, v19, v2, -v52
	v_fma_f16 v19, v57, v2, v68
	v_add_f16_e32 v77, v36, v62
	v_sub_f16_e32 v54, v16, v24
	v_mul_f16_e32 v70, 0xb3a8, v51
	v_mul_f16_e32 v68, 0xb3a8, v53
	v_fma_f16 v26, v79, s15, v66
	v_fma_f16 v27, v83, s16, v72
	v_add_f16_e32 v25, v12, v25
	v_add_f16_e32 v80, v38, v61
	v_mul_f16_e32 v71, 0x3b7b, v53
	v_mul_f16_e32 v69, 0x394e, v54
	v_fma_f16 v28, v79, s18, v70
	v_fma_f16 v55, v77, s18, v68
	v_add_f16_e32 v27, v12, v27
	v_add_f16_e32 v25, v26, v25
	v_fma_f16 v56, v77, s15, v71
	v_add_f16_e32 v26, v28, v27
	v_add_f16_e32 v25, v55, v25
	v_fma_f16 v27, v80, s19, v69
	v_mul_f16_e32 v73, 0x3770, v54
	v_sub_f16_e32 v55, v17, v23
	v_add_f16_e32 v26, v56, v26
	v_add_f16_e32 v25, v27, v25
	v_fma_f16 v27, v80, s20, v73
	v_add_f16_e32 v90, v39, v60
	v_mul_f16_e32 v74, 0x3bf1, v55
	v_add_f16_e32 v26, v27, v26
	v_fma_f16 v27, v90, s16, v74
	v_mul_f16_e32 v75, 0xba95, v55
	v_sub_f16_e32 v59, v18, v19
	v_add_f16_e32 v25, v27, v25
	v_fma_f16 v27, v90, s14, v75
	v_add_f16_e32 v102, v40, v52
	v_mul_f16_e32 v76, 0x3770, v59
	v_add_f16_e32 v27, v27, v26
	v_fma_f16 v26, v102, s20, v76
	v_mul_f16_e32 v78, 0xb94e, v59
	v_add_f16_e32 v26, v26, v25
	v_fma_f16 v25, v102, s19, v78
	;; [unrolled: 3-line block ×16, first 2 shown]
	v_add_f16_e32 v56, v57, v56
	v_sub_f16_e32 v57, v13, v64
	v_add_f16_e32 v135, v65, v32
	v_mul_f16_e32 v84, 0xb770, v57
	v_sub_f16_e32 v92, v33, v63
	v_fma_f16 v58, v135, s20, -v84
	v_add_f16_e32 v132, v14, v31
	v_mul_f16_e32 v85, 0xba95, v92
	v_add_f16_e32 v58, v29, v58
	v_fma_f16 v93, v132, s14, -v85
	v_add_f16_e32 v58, v93, v58
	v_mul_f16_e32 v93, 0xba95, v57
	v_fma_f16 v95, v135, s14, -v93
	v_add_f16_e32 v98, v29, v95
	v_mul_f16_e32 v95, 0xbb7b, v92
	v_fma_f16 v101, v132, s15, -v95
	v_mul_f16_e32 v104, 0xbbf1, v57
	v_mul_f16_e32 v122, 0xb3a8, v37
	v_add_f16_e32 v101, v101, v98
	v_fma_f16 v98, v135, s16, -v104
	v_mul_f16_e32 v106, 0xb3a8, v92
	v_fma_f16 v37, v83, s18, v122
	v_mul_f16_e32 v123, 0x3770, v51
	v_add_f16_e32 v98, v29, v98
	v_fma_f16 v107, v132, s18, -v106
	v_mul_f16_e32 v110, 0xbb7b, v57
	v_add_f16_e32 v37, v12, v37
	v_fma_f16 v51, v79, s20, v123
	v_mul_f16_e32 v128, 0xb3a8, v57
	v_add_f16_e32 v107, v107, v98
	v_fma_f16 v98, v135, s15, -v110
	v_mul_f16_e32 v111, 0x394e, v92
	v_add_f16_e32 v37, v51, v37
	v_fma_f16 v51, v135, s18, -v128
	;; [unrolled: 3-line block ×3, first 2 shown]
	v_mul_f16_e32 v118, 0xb94e, v57
	v_mul_f16_e32 v119, 0x3bf1, v92
	v_add_f16_e32 v51, v29, v51
	v_fma_f16 v57, v132, s20, -v129
	v_mul_f16_e32 v92, 0xbbf1, v53
	v_add_f16_e32 v109, v108, v98
	v_fma_f16 v98, v135, s19, -v118
	v_add_f16_e32 v51, v57, v51
	v_fma_f16 v57, v77, s16, v92
	v_add_f16_e32 v98, v29, v98
	v_fma_f16 v108, v132, s16, -v119
	v_add_f16_e32 v56, v57, v56
	v_sub_f16_e32 v57, v36, v62
	v_add_f16_e32 v112, v108, v98
	v_add_f16_e32 v140, v15, v30
	v_mul_f16_e32 v98, 0xbbf1, v57
	v_fma_f16 v108, v140, s16, -v98
	v_add_f16_e32 v58, v108, v58
	v_mul_f16_e32 v108, 0xb3a8, v57
	v_fma_f16 v113, v140, s18, -v108
	v_mul_f16_e32 v114, 0x3b7b, v57
	v_add_f16_e32 v115, v113, v101
	v_fma_f16 v101, v140, s15, -v114
	v_mul_f16_e32 v121, 0x3770, v57
	v_add_f16_e32 v116, v101, v107
	v_fma_f16 v101, v140, s20, -v121
	v_mul_f16_e32 v127, 0xba95, v57
	v_mul_f16_e32 v130, 0xb94e, v53
	v_add_f16_e32 v109, v101, v109
	v_fma_f16 v101, v140, s14, -v127
	v_fma_f16 v53, v77, s19, v130
	v_mul_f16_e32 v136, 0xb94e, v57
	v_add_f16_e32 v112, v101, v112
	v_add_f16_e32 v37, v53, v37
	v_fma_f16 v53, v140, s19, -v136
	v_mul_f16_e32 v101, 0xbb7b, v54
	v_add_f16_e32 v51, v53, v51
	v_fma_f16 v53, v80, s15, v101
	v_add_f16_e32 v53, v53, v56
	v_sub_f16_e32 v56, v38, v61
	v_add_f16_e32 v143, v16, v24
	v_mul_f16_e32 v107, 0xbb7b, v56
	v_fma_f16 v57, v143, s15, -v107
	v_mul_f16_e32 v113, 0x394e, v56
	v_add_f16_e32 v57, v57, v58
	v_fma_f16 v58, v143, s19, -v113
	v_mul_f16_e32 v120, 0x3770, v56
	v_add_f16_e32 v58, v58, v115
	;; [unrolled: 3-line block ×3, first 2 shown]
	v_fma_f16 v116, v143, s16, -v126
	v_mul_f16_e32 v134, 0x33a8, v56
	v_mul_f16_e32 v137, 0x3a95, v54
	v_add_f16_e32 v116, v116, v109
	v_fma_f16 v109, v143, s18, -v134
	v_fma_f16 v54, v80, s14, v137
	v_mul_f16_e32 v141, 0x3a95, v56
	v_add_f16_e32 v124, v109, v112
	v_add_f16_e32 v37, v54, v37
	v_fma_f16 v54, v143, s14, -v141
	v_mul_f16_e32 v109, 0xb94e, v55
	v_add_f16_e32 v51, v54, v51
	v_fma_f16 v54, v90, s19, v109
	v_add_f16_e32 v53, v54, v53
	v_sub_f16_e32 v54, v39, v60
	v_add_f16_e32 v146, v17, v23
	v_mul_f16_e32 v112, 0xb94e, v54
	v_fma_f16 v56, v146, s19, -v112
	v_mul_f16_e32 v117, 0x3bf1, v54
	v_add_f16_e32 v56, v56, v57
	v_fma_f16 v57, v146, s16, -v117
	v_mul_f16_e32 v125, 0xba95, v54
	v_add_f16_e32 v131, v57, v58
	v_fma_f16 v57, v146, s14, -v125
	v_mul_f16_e32 v133, 0x33a8, v54
	v_mul_f16_e32 v145, 0xbb7b, v54
	v_add_f16_e32 v138, v57, v115
	v_fma_f16 v57, v146, s18, -v133
	v_mul_f16_e32 v139, 0x3770, v54
	v_fma_f16 v54, v146, s15, -v145
	v_mul_f16_e32 v115, 0xb3a8, v59
	v_sub_f16_e32 v149, v40, v52
	v_add_f16_e32 v144, v57, v116
	v_fma_f16 v57, v146, s20, -v139
	v_add_f16_e32 v51, v54, v51
	v_fma_f16 v54, v102, s18, v115
	v_add_f16_e32 v148, v18, v19
	v_mul_f16_e32 v116, 0xb3a8, v149
	v_add_f16_e32 v147, v57, v124
	v_add_f16_e32 v57, v54, v53
	v_fma_f16 v53, v148, s18, -v116
	v_mul_f16_e32 v124, 0x3770, v149
	v_add_f16_e32 v58, v53, v56
	v_fma_f16 v53, v148, s20, -v124
	v_mul_f16_e32 v142, 0xbb7b, v55
	v_add_f16_e32 v56, v53, v131
	v_mul_f16_e32 v131, 0xb94e, v149
	v_fma_f16 v55, v90, s15, v142
	v_fma_f16 v53, v148, s19, -v131
	v_add_f16_e32 v37, v55, v37
	v_add_f16_e32 v55, v53, v138
	v_mul_f16_e32 v138, 0x3a95, v149
	v_fma_f16 v53, v148, s14, -v138
	v_add_f16_e32 v54, v53, v144
	v_mul_f16_e32 v144, 0xbb7b, v149
	v_fma_f16 v53, v148, s15, -v144
	v_add_f16_e32 v53, v53, v147
	v_mul_f16_e32 v147, 0x3bf1, v59
	v_fma_f16 v59, v102, s16, v147
	v_mul_f16_e32 v149, 0x3bf1, v149
	v_add_f16_e32 v37, v59, v37
	v_fma_f16 v59, v148, s16, -v149
	v_add_f16_e32 v59, v59, v51
	v_lshrrev_b32_e32 v51, 1, v47
	s_and_saveexec_b64 s[14:15], s[2:3]
	s_cbranch_execz .LBB0_11
; %bb.10:
	v_mul_f16_e32 v150, 0x3b15, v83
	v_mul_f16_e32 v152, 0x388b, v83
	;; [unrolled: 1-line block ×12, first 2 shown]
	v_sub_f16_e32 v83, v83, v122
	v_sub_f16_e32 v67, v152, v67
	v_mul_f16_e32 v170, 0x2fb7, v77
	v_mul_f16_e32 v172, 0xbbc4, v77
	v_mul_f16_e32 v174, 0xb5ac, v77
	v_mul_f16_e32 v176, 0x3b15, v77
	v_mul_f16_e32 v178, 0x388b, v77
	v_mul_f16_e32 v77, 0xb9fd, v77
	v_add_f16_e32 v83, v12, v83
	v_sub_f16_e32 v79, v79, v123
	v_add_f16_e32 v67, v12, v67
	v_sub_f16_e32 v66, v162, v66
	v_mul_f16_e32 v180, 0xb5ac, v80
	v_mul_f16_e32 v182, 0xb9fd, v80
	v_mul_f16_e32 v184, 0x3b15, v80
	v_mul_f16_e32 v186, 0x2fb7, v80
	v_mul_f16_e32 v188, 0xbbc4, v80
	v_mul_f16_e32 v80, 0x388b, v80
	v_add_f16_e32 v79, v79, v83
	v_sub_f16_e32 v77, v77, v130
	v_add_f16_e32 v66, v66, v67
	;; [unrolled: 10-line block ×4, first 2 shown]
	v_sub_f16_e32 v67, v192, v74
	v_mul_f16_e32 v151, 0x3b15, v135
	v_mul_f16_e32 v159, 0xb9fd, v135
	v_add_f16_e32 v77, v79, v77
	v_sub_f16_e32 v79, v102, v147
	v_add_f16_e32 v66, v67, v66
	v_sub_f16_e32 v67, v202, v76
	v_mul_f16_e32 v161, 0x388b, v132
	v_mul_f16_e32 v169, 0x2fb7, v132
	v_add_f16_e32 v77, v79, v77
	v_add_f16_e32 v79, v118, v159
	v_add_f16_e32 v66, v67, v66
	v_add_f16_e32 v67, v84, v151
	v_mul_f16_e32 v171, 0x2fb7, v140
	v_mul_f16_e32 v179, 0x388b, v140
	v_add_f16_e32 v79, v29, v79
	v_add_f16_e32 v80, v119, v169
	v_add_f16_e32 v67, v29, v67
	v_add_f16_e32 v68, v85, v161
	;; [unrolled: 6-line block ×5, first 2 shown]
	v_add_f16_e32 v79, v80, v79
	v_add_f16_e32 v80, v144, v209
	v_add_f16_e32 v67, v68, v67
	v_add_f16_e32 v68, v116, v201
	v_add_f16_e32 v79, v80, v79
	v_sub_f16_e32 v80, v158, v96
	v_sub_f16_e32 v86, v156, v86
	;; [unrolled: 1-line block ×3, first 2 shown]
	v_add_f16_e32 v67, v68, v67
	v_sub_f16_e32 v68, v150, v81
	v_add_f16_e32 v80, v12, v80
	v_add_f16_e32 v86, v12, v86
	;; [unrolled: 1-line block ×6, first 2 shown]
	v_sub_f16_e32 v87, v166, v87
	v_sub_f16_e32 v70, v164, v70
	v_add_f16_e32 v12, v12, v33
	v_add_f16_e32 v13, v13, v14
	v_sub_f16_e32 v83, v168, v97
	v_add_f16_e32 v86, v87, v86
	v_sub_f16_e32 v87, v176, v88
	v_add_f16_e32 v70, v70, v72
	v_sub_f16_e32 v71, v174, v71
	v_add_f16_e32 v12, v12, v36
	v_add_f16_e32 v13, v13, v15
	v_add_f16_e32 v80, v83, v80
	v_sub_f16_e32 v83, v178, v99
	v_add_f16_e32 v86, v87, v86
	v_sub_f16_e32 v87, v186, v89
	v_add_f16_e32 v70, v71, v70
	v_sub_f16_e32 v71, v184, v73
	v_add_f16_e32 v12, v12, v38
	;; [unrolled: 8-line block ×3, first 2 shown]
	v_add_f16_e32 v13, v13, v17
	v_mul_f16_e32 v153, 0x388b, v135
	v_mul_f16_e32 v155, 0x2fb7, v135
	v_add_f16_e32 v80, v83, v80
	v_sub_f16_e32 v83, v198, v103
	v_add_f16_e32 v86, v87, v86
	v_sub_f16_e32 v87, v206, v94
	;; [unrolled: 2-line block ×3, first 2 shown]
	v_add_f16_e32 v12, v12, v40
	v_add_f16_e32 v13, v13, v18
	v_mul_f16_e32 v157, 0xb5ac, v135
	v_mul_f16_e32 v163, 0xb5ac, v132
	;; [unrolled: 1-line block ×3, first 2 shown]
	v_add_f16_e32 v80, v83, v80
	v_sub_f16_e32 v83, v208, v105
	v_add_f16_e32 v86, v87, v86
	v_add_f16_e32 v87, v104, v155
	;; [unrolled: 1-line block ×4, first 2 shown]
	v_sub_f16_e32 v69, v160, v82
	v_add_f16_e32 v12, v12, v52
	v_add_f16_e32 v13, v13, v19
	v_mul_f16_e32 v135, 0xbbc4, v135
	v_mul_f16_e32 v167, 0xb9fd, v132
	;; [unrolled: 1-line block ×4, first 2 shown]
	v_add_f16_e32 v80, v83, v80
	v_add_f16_e32 v83, v110, v157
	;; [unrolled: 1-line block ×7, first 2 shown]
	v_sub_f16_e32 v69, v170, v92
	v_add_f16_e32 v12, v12, v60
	v_add_f16_e32 v13, v13, v23
	v_mul_f16_e32 v132, 0x3b15, v132
	v_mul_f16_e32 v177, 0x3b15, v140
	;; [unrolled: 1-line block ×4, first 2 shown]
	v_add_f16_e32 v128, v128, v135
	v_add_f16_e32 v83, v29, v83
	;; [unrolled: 1-line block ×8, first 2 shown]
	v_sub_f16_e32 v69, v180, v101
	v_add_f16_e32 v12, v12, v61
	v_add_f16_e32 v13, v13, v24
	v_mul_f16_e32 v140, 0xb9fd, v140
	v_mul_f16_e32 v187, 0x2fb7, v143
	v_mul_f16_e32 v193, 0x2fb7, v146
	v_mul_f16_e32 v195, 0x388b, v146
	v_add_f16_e32 v128, v29, v128
	v_add_f16_e32 v129, v129, v132
	;; [unrolled: 1-line block ×9, first 2 shown]
	v_sub_f16_e32 v69, v190, v109
	v_add_f16_e32 v12, v12, v62
	v_add_f16_e32 v13, v13, v30
	v_mul_f16_e32 v143, 0x388b, v143
	v_mul_f16_e32 v197, 0xbbc4, v146
	;; [unrolled: 1-line block ×4, first 2 shown]
	v_add_f16_e32 v128, v129, v128
	v_add_f16_e32 v129, v136, v140
	;; [unrolled: 1-line block ×9, first 2 shown]
	v_sub_f16_e32 v69, v200, v115
	v_add_f16_e32 v12, v12, v63
	v_add_f16_e32 v13, v13, v31
	v_mul_u32_u24_e32 v14, 26, v51
	v_mul_f16_e32 v146, 0xb5ac, v146
	v_mul_f16_e32 v207, 0x388b, v148
	v_add_f16_e32 v128, v129, v128
	v_add_f16_e32 v129, v141, v143
	;; [unrolled: 1-line block ×11, first 2 shown]
	v_or_b32_e32 v14, v14, v49
	v_mul_f16_e32 v148, 0x2fb7, v148
	v_add_f16_e32 v128, v129, v128
	v_add_f16_e32 v129, v145, v146
	;; [unrolled: 1-line block ×6, first 2 shown]
	v_lshlrev_b32_e32 v14, 2, v14
	v_pack_b32_f16 v12, v12, v13
	v_pack_b32_f16 v13, v68, v67
	v_add_f16_e32 v128, v129, v128
	v_add_f16_e32 v129, v149, v148
	;; [unrolled: 1-line block ×3, first 2 shown]
	ds_write2_b32 v14, v12, v13 offset1:2
	v_pack_b32_f16 v12, v66, v71
	v_pack_b32_f16 v13, v70, v87
	v_add_f16_e32 v128, v129, v128
	ds_write2_b32 v14, v12, v13 offset0:4 offset1:6
	v_pack_b32_f16 v12, v86, v83
	v_pack_b32_f16 v13, v80, v79
	s_mov_b32 s16, 0x5040100
	ds_write2_b32 v14, v12, v13 offset0:8 offset1:10
	v_pack_b32_f16 v12, v77, v128
	v_perm_b32 v13, v59, v37, s16
	ds_write2_b32 v14, v12, v13 offset0:12 offset1:14
	v_perm_b32 v12, v53, v27, s16
	v_perm_b32 v13, v54, v28, s16
	ds_write2_b32 v14, v12, v13 offset0:16 offset1:18
	v_perm_b32 v12, v55, v25, s16
	;; [unrolled: 3-line block ×3, first 2 shown]
	ds_write_b32 v14, v12 offset:96
.LBB0_11:
	s_or_b64 exec, exec, s[14:15]
	s_movk_i32 s14, 0x4f
	v_mul_lo_u16_sdwa v12, v47, s14 dst_sel:DWORD dst_unused:UNUSED_PAD src0_sel:BYTE_0 src1_sel:DWORD
	v_lshrrev_b16_e32 v31, 11, v12
	v_mul_lo_u16_e32 v12, 26, v31
	v_sub_u16_e32 v12, v47, v12
	v_and_b32_e32 v32, 0xff, v12
	v_mad_u64_u32 v[16:17], s[14:15], v32, 24, s[4:5]
	s_waitcnt lgkmcnt(0)
	s_barrier
	global_load_dwordx4 v[12:15], v[16:17], off offset:96
	global_load_dwordx2 v[23:24], v[16:17], off offset:112
	v_add_u32_e32 v33, 0x500, v41
	v_add_u32_e32 v36, 0xb00, v41
	ds_read2_b32 v[16:17], v41 offset1:182
	ds_read_b32 v38, v41 offset:4368
	ds_read2_b32 v[18:19], v33 offset0:44 offset1:226
	ds_read2_b32 v[29:30], v36 offset0:24 offset1:206
	s_movk_i32 s15, 0x2b26
	s_waitcnt lgkmcnt(3)
	v_lshrrev_b32_e32 v39, 16, v17
	s_waitcnt lgkmcnt(2)
	v_lshrrev_b32_e32 v40, 16, v38
	;; [unrolled: 2-line block ×4, first 2 shown]
	v_lshrrev_b32_e32 v60, 16, v19
	v_lshrrev_b32_e32 v61, 16, v29
	s_mov_b32 s16, 0xbcab
	s_movk_i32 s18, 0x39e0
	s_mov_b32 s19, 0xb9e0
	s_movk_i32 s20, 0x3574
	s_movk_i32 s14, 0x3b00
	s_mov_b32 s21, 0xb574
	s_movk_i32 s22, 0x370e
	v_mul_u32_u24_e32 v31, 0xb6, v31
	s_waitcnt vmcnt(0)
	s_barrier
	v_mul_f16_sdwa v63, v39, v12 dst_sel:DWORD dst_unused:UNUSED_PAD src0_sel:DWORD src1_sel:WORD_1
	v_mul_f16_sdwa v64, v17, v12 dst_sel:DWORD dst_unused:UNUSED_PAD src0_sel:DWORD src1_sel:WORD_1
	;; [unrolled: 1-line block ×12, first 2 shown]
	v_fma_f16 v17, v17, v12, -v63
	v_fma_f16 v39, v39, v12, v64
	v_fma_f16 v18, v18, v13, -v65
	v_fma_f16 v52, v52, v13, v66
	;; [unrolled: 2-line block ×6, first 2 shown]
	v_add_f16_e32 v63, v17, v38
	v_add_f16_e32 v64, v39, v40
	v_sub_f16_e32 v17, v17, v38
	v_sub_f16_e32 v38, v39, v40
	v_add_f16_e32 v39, v18, v30
	v_add_f16_e32 v40, v52, v62
	v_sub_f16_e32 v18, v18, v30
	v_sub_f16_e32 v30, v52, v62
	;; [unrolled: 4-line block ×4, first 2 shown]
	v_sub_f16_e32 v63, v63, v52
	v_sub_f16_e32 v64, v64, v62
	;; [unrolled: 1-line block ×4, first 2 shown]
	v_add_f16_e32 v67, v19, v18
	v_add_f16_e32 v68, v29, v30
	v_sub_f16_e32 v69, v19, v18
	v_sub_f16_e32 v70, v29, v30
	v_add_f16_e32 v52, v52, v60
	v_add_f16_e32 v60, v62, v61
	v_sub_f16_e32 v19, v17, v19
	v_sub_f16_e32 v29, v38, v29
	;; [unrolled: 1-line block ×4, first 2 shown]
	v_add_f16_e32 v17, v67, v17
	v_add_f16_e32 v38, v68, v38
	v_mul_f16_e32 v61, 0x3a52, v63
	v_mul_f16_e32 v62, 0x3a52, v64
	;; [unrolled: 1-line block ×6, first 2 shown]
	v_add_f16_e32 v71, v16, v52
	v_add_f16_sdwa v16, v16, v60 dst_sel:DWORD dst_unused:UNUSED_PAD src0_sel:WORD_1 src1_sel:DWORD
	v_mul_f16_e32 v69, 0x3b00, v18
	v_mul_f16_e32 v70, 0x3b00, v30
	v_fma_f16 v39, v39, s15, v61
	v_fma_f16 v52, v52, s16, v71
	;; [unrolled: 1-line block ×4, first 2 shown]
	v_fma_f16 v63, v65, s18, -v63
	v_fma_f16 v64, v66, s18, -v64
	;; [unrolled: 1-line block ×4, first 2 shown]
	v_fma_f16 v65, v19, s20, v67
	v_fma_f16 v66, v29, s20, v68
	v_fma_f16 v18, v18, s14, -v67
	v_fma_f16 v30, v30, s14, -v68
	;; [unrolled: 1-line block ×4, first 2 shown]
	v_add_f16_e32 v39, v39, v52
	v_add_f16_e32 v40, v40, v60
	;; [unrolled: 1-line block ×6, first 2 shown]
	v_fma_f16 v61, v17, s22, v65
	v_fma_f16 v62, v38, s22, v66
	v_fma_f16 v18, v17, s22, v18
	v_fma_f16 v30, v38, s22, v30
	v_fma_f16 v17, v17, s22, v19
	v_fma_f16 v19, v38, s22, v29
	v_add_f16_e32 v29, v62, v39
	v_sub_f16_e32 v38, v40, v61
	v_add_f16_e32 v65, v19, v52
	v_sub_f16_e32 v66, v60, v17
	v_sub_f16_e32 v67, v63, v30
	v_add_f16_e32 v68, v18, v64
	v_sub_f16_e32 v19, v52, v19
	v_add_lshl_u32 v52, v31, v32, 2
	v_pack_b32_f16 v16, v71, v16
	v_pack_b32_f16 v29, v29, v38
	v_mad_u64_u32 v[31:32], s[4:5], v47, 24, s[4:5]
	v_add_f16_e32 v30, v30, v63
	v_sub_f16_e32 v18, v64, v18
	v_add_f16_e32 v17, v17, v60
	ds_write2_b32 v52, v16, v29 offset1:26
	v_pack_b32_f16 v16, v65, v66
	v_pack_b32_f16 v29, v67, v68
	v_sub_f16_e32 v39, v39, v62
	v_add_f16_e32 v40, v61, v40
	ds_write2_b32 v52, v16, v29 offset0:52 offset1:78
	v_pack_b32_f16 v16, v30, v18
	v_pack_b32_f16 v17, v19, v17
	ds_write2_b32 v52, v16, v17 offset0:104 offset1:130
	v_pack_b32_f16 v16, v39, v40
	ds_write_b32 v52, v16 offset:624
	s_waitcnt lgkmcnt(0)
	s_barrier
	global_load_dwordx4 v[16:19], v[31:32], off offset:720
	global_load_dwordx2 v[29:30], v[31:32], off offset:736
	ds_read2_b32 v[31:32], v41 offset1:182
	ds_read2_b32 v[38:39], v33 offset0:44 offset1:226
	ds_read2_b32 v[60:61], v36 offset0:24 offset1:206
	ds_read_b32 v62, v41 offset:4368
	v_mov_b32_e32 v40, s17
	v_addc_co_u32_e64 v40, vcc, 0, v40, s[6:7]
	s_waitcnt lgkmcnt(3)
	v_lshrrev_b32_e32 v63, 16, v32
	s_waitcnt lgkmcnt(2)
	v_lshrrev_b32_e32 v65, 16, v39
	;; [unrolled: 2-line block ×3, first 2 shown]
	v_lshrrev_b32_e32 v67, 16, v61
	s_waitcnt lgkmcnt(0)
	v_lshrrev_b32_e32 v68, 16, v62
	v_lshrrev_b32_e32 v64, 16, v38
	s_movk_i32 s4, 0x1000
	s_waitcnt vmcnt(1)
	v_mul_f16_sdwa v69, v63, v16 dst_sel:DWORD dst_unused:UNUSED_PAD src0_sel:DWORD src1_sel:WORD_1
	v_mul_f16_sdwa v73, v65, v18 dst_sel:DWORD dst_unused:UNUSED_PAD src0_sel:DWORD src1_sel:WORD_1
	;; [unrolled: 1-line block ×3, first 2 shown]
	v_fma_f16 v32, v32, v16, -v69
	v_fma_f16 v69, v39, v18, -v73
	v_mul_f16_sdwa v39, v39, v18 dst_sel:DWORD dst_unused:UNUSED_PAD src0_sel:DWORD src1_sel:WORD_1
	v_fma_f16 v39, v65, v18, v39
	v_mul_f16_sdwa v65, v66, v19 dst_sel:DWORD dst_unused:UNUSED_PAD src0_sel:DWORD src1_sel:WORD_1
	v_fma_f16 v65, v60, v19, -v65
	v_mul_f16_sdwa v60, v60, v19 dst_sel:DWORD dst_unused:UNUSED_PAD src0_sel:DWORD src1_sel:WORD_1
	v_fma_f16 v60, v66, v19, v60
	s_waitcnt vmcnt(0)
	v_mul_f16_sdwa v66, v67, v29 dst_sel:DWORD dst_unused:UNUSED_PAD src0_sel:DWORD src1_sel:WORD_1
	v_fma_f16 v66, v61, v29, -v66
	v_mul_f16_sdwa v61, v61, v29 dst_sel:DWORD dst_unused:UNUSED_PAD src0_sel:DWORD src1_sel:WORD_1
	v_fma_f16 v61, v67, v29, v61
	v_mul_f16_sdwa v67, v68, v30 dst_sel:DWORD dst_unused:UNUSED_PAD src0_sel:DWORD src1_sel:WORD_1
	v_mul_f16_sdwa v71, v64, v17 dst_sel:DWORD dst_unused:UNUSED_PAD src0_sel:DWORD src1_sel:WORD_1
	;; [unrolled: 1-line block ×3, first 2 shown]
	v_fma_f16 v67, v62, v30, -v67
	v_mul_f16_sdwa v62, v62, v30 dst_sel:DWORD dst_unused:UNUSED_PAD src0_sel:DWORD src1_sel:WORD_1
	v_fma_f16 v63, v63, v16, v70
	v_fma_f16 v38, v38, v17, -v71
	v_fma_f16 v64, v64, v17, v72
	v_fma_f16 v62, v68, v30, v62
	v_add_f16_e32 v68, v32, v67
	v_add_f16_e32 v70, v63, v62
	v_sub_f16_e32 v32, v32, v67
	v_sub_f16_e32 v62, v63, v62
	v_add_f16_e32 v63, v38, v66
	v_add_f16_e32 v67, v64, v61
	v_sub_f16_e32 v38, v38, v66
	v_sub_f16_e32 v61, v64, v61
	v_add_f16_e32 v64, v69, v65
	v_add_f16_e32 v66, v39, v60
	v_sub_f16_e32 v65, v65, v69
	v_sub_f16_e32 v39, v60, v39
	v_add_f16_e32 v60, v63, v68
	v_add_f16_e32 v69, v67, v70
	v_sub_f16_e32 v71, v63, v68
	v_sub_f16_e32 v72, v67, v70
	v_sub_f16_e32 v68, v68, v64
	v_sub_f16_e32 v70, v70, v66
	;; [unrolled: 1-line block ×4, first 2 shown]
	v_add_f16_e32 v73, v65, v38
	v_add_f16_e32 v74, v39, v61
	v_sub_f16_e32 v75, v65, v38
	v_sub_f16_e32 v76, v39, v61
	v_add_f16_e32 v60, v64, v60
	v_add_f16_e32 v64, v66, v69
	v_sub_f16_e32 v65, v32, v65
	v_sub_f16_e32 v39, v62, v39
	;; [unrolled: 1-line block ×4, first 2 shown]
	v_add_f16_e32 v32, v73, v32
	v_add_f16_e32 v62, v74, v62
	;; [unrolled: 1-line block ×3, first 2 shown]
	v_add_f16_sdwa v31, v31, v64 dst_sel:DWORD dst_unused:UNUSED_PAD src0_sel:WORD_1 src1_sel:DWORD
	v_mul_f16_e32 v68, 0x3a52, v68
	v_mul_f16_e32 v69, 0x3a52, v70
	;; [unrolled: 1-line block ×8, first 2 shown]
	v_fma_f16 v60, v60, s16, v66
	v_fma_f16 v64, v64, s16, v31
	;; [unrolled: 1-line block ×4, first 2 shown]
	v_fma_f16 v70, v71, s18, -v70
	v_fma_f16 v73, v72, s18, -v73
	;; [unrolled: 1-line block ×4, first 2 shown]
	v_fma_f16 v71, v65, s20, v74
	v_fma_f16 v72, v39, s20, v75
	v_fma_f16 v38, v38, s14, -v74
	v_fma_f16 v61, v61, s14, -v75
	;; [unrolled: 1-line block ×4, first 2 shown]
	v_add_f16_e32 v63, v63, v60
	v_add_f16_e32 v67, v67, v64
	;; [unrolled: 1-line block ×6, first 2 shown]
	v_fma_f16 v68, v32, s22, v71
	v_fma_f16 v69, v62, s22, v72
	;; [unrolled: 1-line block ×6, first 2 shown]
	v_add_f16_e32 v65, v69, v63
	v_sub_f16_e32 v71, v67, v68
	v_add_f16_e32 v72, v39, v60
	v_sub_f16_e32 v74, v64, v32
	v_sub_f16_e32 v75, v70, v61
	v_add_f16_e32 v76, v38, v73
	v_sub_f16_e32 v39, v60, v39
	v_pack_b32_f16 v31, v66, v31
	v_pack_b32_f16 v60, v65, v71
	v_add_f16_e32 v70, v61, v70
	v_sub_f16_e32 v38, v73, v38
	v_add_f16_e32 v32, v32, v64
	ds_write2_b32 v41, v31, v60 offset1:182
	v_pack_b32_f16 v31, v72, v74
	v_pack_b32_f16 v60, v75, v76
	v_sub_f16_e32 v61, v63, v69
	v_add_f16_e32 v62, v68, v67
	ds_write2_b32 v33, v31, v60 offset0:44 offset1:226
	v_pack_b32_f16 v31, v70, v38
	v_pack_b32_f16 v32, v39, v32
	ds_write2_b32 v36, v31, v32 offset0:24 offset1:206
	v_pack_b32_f16 v31, v61, v62
	ds_write_b32 v41, v31 offset:4368
	v_add_co_u32_e32 v31, vcc, s4, v20
	v_addc_co_u32_e32 v32, vcc, 0, v40, vcc
	s_waitcnt lgkmcnt(0)
	s_barrier
	global_load_dword v33, v[31:32], off offset:1000
	s_movk_i32 s4, 0x13e8
	v_add_co_u32_e32 v31, vcc, s4, v20
	v_addc_co_u32_e32 v32, vcc, 0, v40, vcc
	global_load_dword v36, v[31:32], off offset:2548
	global_load_dword v40, v[31:32], off offset:728
	;; [unrolled: 1-line block ×5, first 2 shown]
	ds_read2_b32 v[38:39], v41 offset1:182
	s_waitcnt lgkmcnt(0)
	v_lshrrev_b32_e32 v63, 16, v38
	s_waitcnt vmcnt(5)
	v_mul_f16_sdwa v64, v63, v33 dst_sel:DWORD dst_unused:UNUSED_PAD src0_sel:DWORD src1_sel:WORD_1
	v_fma_f16 v64, v38, v33, -v64
	v_mul_f16_sdwa v38, v38, v33 dst_sel:DWORD dst_unused:UNUSED_PAD src0_sel:DWORD src1_sel:WORD_1
	v_fma_f16 v33, v63, v33, v38
	v_pack_b32_f16 v33, v64, v33
	ds_write_b32 v41, v33
	v_add_u32_e32 v33, 0x900, v41
	ds_read2_b32 v[63:64], v33 offset0:61 offset1:243
	s_waitcnt lgkmcnt(0)
	v_lshrrev_b32_e32 v38, 16, v63
	s_waitcnt vmcnt(4)
	v_mul_f16_sdwa v67, v38, v36 dst_sel:DWORD dst_unused:UNUSED_PAD src0_sel:DWORD src1_sel:WORD_1
	v_fma_f16 v67, v63, v36, -v67
	v_mul_f16_sdwa v63, v63, v36 dst_sel:DWORD dst_unused:UNUSED_PAD src0_sel:DWORD src1_sel:WORD_1
	v_fma_f16 v36, v38, v36, v63
	v_lshrrev_b32_e32 v38, 16, v39
	s_waitcnt vmcnt(3)
	v_mul_f16_sdwa v63, v38, v40 dst_sel:DWORD dst_unused:UNUSED_PAD src0_sel:DWORD src1_sel:WORD_1
	v_fma_f16 v63, v39, v40, -v63
	v_mul_f16_sdwa v39, v39, v40 dst_sel:DWORD dst_unused:UNUSED_PAD src0_sel:DWORD src1_sel:WORD_1
	v_fma_f16 v38, v38, v40, v39
	v_lshrrev_b32_e32 v39, 16, v64
	s_waitcnt vmcnt(2)
	v_mul_f16_sdwa v40, v39, v60 dst_sel:DWORD dst_unused:UNUSED_PAD src0_sel:DWORD src1_sel:WORD_1
	v_pack_b32_f16 v38, v63, v38
	v_fma_f16 v40, v64, v60, -v40
	v_mul_f16_sdwa v63, v64, v60 dst_sel:DWORD dst_unused:UNUSED_PAD src0_sel:DWORD src1_sel:WORD_1
	ds_read_b32 v64, v41 offset:1456
	v_fma_f16 v39, v39, v60, v63
	v_pack_b32_f16 v36, v67, v36
	v_pack_b32_f16 v39, v40, v39
	ds_write2_b32 v33, v36, v39 offset0:61 offset1:243
	ds_read_b32 v36, v41 offset:4004
	s_waitcnt lgkmcnt(2)
	v_lshrrev_b32_e32 v39, 16, v64
	s_waitcnt vmcnt(0)
	v_mul_f16_sdwa v40, v39, v66 dst_sel:DWORD dst_unused:UNUSED_PAD src0_sel:DWORD src1_sel:WORD_1
	v_mul_f16_sdwa v60, v64, v66 dst_sel:DWORD dst_unused:UNUSED_PAD src0_sel:DWORD src1_sel:WORD_1
	v_fma_f16 v40, v64, v66, -v40
	v_fma_f16 v39, v39, v66, v60
	v_pack_b32_f16 v39, v40, v39
	v_add_u32_e32 v40, 0x200, v41
	ds_write2_b32 v40, v38, v39 offset0:54 offset1:236
	s_waitcnt lgkmcnt(1)
	v_lshrrev_b32_e32 v38, 16, v36
	v_mul_f16_sdwa v39, v38, v65 dst_sel:DWORD dst_unused:UNUSED_PAD src0_sel:DWORD src1_sel:WORD_1
	v_fma_f16 v39, v36, v65, -v39
	v_mul_f16_sdwa v36, v36, v65 dst_sel:DWORD dst_unused:UNUSED_PAD src0_sel:DWORD src1_sel:WORD_1
	v_fma_f16 v36, v38, v65, v36
	v_pack_b32_f16 v36, v39, v36
	ds_write_b32 v41, v36 offset:4004
	s_and_saveexec_b64 s[4:5], s[0:1]
	s_cbranch_execz .LBB0_13
; %bb.12:
	global_load_dword v36, v[31:32], off offset:2184
	v_add_co_u32_e32 v31, vcc, 0x1000, v31
	v_addc_co_u32_e32 v32, vcc, 0, v32, vcc
	global_load_dword v31, v[31:32], off offset:636
	ds_read_b32 v32, v41 offset:2184
	ds_read_b32 v38, v41 offset:4732
	s_waitcnt lgkmcnt(1)
	v_lshrrev_b32_e32 v39, 16, v32
	s_waitcnt lgkmcnt(0)
	v_lshrrev_b32_e32 v40, 16, v38
	s_waitcnt vmcnt(1)
	v_mul_f16_sdwa v60, v39, v36 dst_sel:DWORD dst_unused:UNUSED_PAD src0_sel:DWORD src1_sel:WORD_1
	v_mul_f16_sdwa v63, v32, v36 dst_sel:DWORD dst_unused:UNUSED_PAD src0_sel:DWORD src1_sel:WORD_1
	v_fma_f16 v32, v32, v36, -v60
	v_fma_f16 v36, v39, v36, v63
	v_pack_b32_f16 v32, v32, v36
	s_waitcnt vmcnt(0)
	v_mul_f16_sdwa v36, v40, v31 dst_sel:DWORD dst_unused:UNUSED_PAD src0_sel:DWORD src1_sel:WORD_1
	v_mul_f16_sdwa v39, v38, v31 dst_sel:DWORD dst_unused:UNUSED_PAD src0_sel:DWORD src1_sel:WORD_1
	ds_write_b32 v41, v32 offset:2184
	v_fma_f16 v32, v38, v31, -v36
	v_fma_f16 v31, v40, v31, v39
	v_pack_b32_f16 v31, v32, v31
	ds_write_b32 v41, v31 offset:4732
.LBB0_13:
	s_or_b64 exec, exec, s[4:5]
	s_waitcnt lgkmcnt(0)
	s_barrier
	ds_read2_b32 v[39:40], v41 offset1:182
	ds_read2_b32 v[32:33], v33 offset0:61 offset1:243
	ds_read_b32 v64, v41 offset:1456
	ds_read_b32 v31, v41 offset:4004
	v_add_u32_e32 v65, 0x5b0, v34
	v_add_u32_e32 v63, 0xb60, v34
	s_and_saveexec_b64 s[4:5], s[0:1]
	s_cbranch_execz .LBB0_15
; %bb.14:
	ds_read_b32 v61, v41 offset:2184
	ds_read_b32 v37, v41 offset:4732
	s_waitcnt lgkmcnt(1)
	v_lshrrev_b32_e32 v62, 16, v61
	s_waitcnt lgkmcnt(0)
	v_lshrrev_b32_e32 v59, 16, v37
.LBB0_15:
	s_or_b64 exec, exec, s[4:5]
	s_waitcnt lgkmcnt(2)
	v_pk_add_f16 v32, v39, v32 neg_lo:[0,1] neg_hi:[0,1]
	v_pk_add_f16 v38, v40, v33 neg_lo:[0,1] neg_hi:[0,1]
	s_waitcnt lgkmcnt(0)
	v_pk_add_f16 v36, v64, v31 neg_lo:[0,1] neg_hi:[0,1]
	v_sub_f16_e32 v34, v61, v37
	v_sub_f16_e32 v60, v62, v59
	v_pk_fma_f16 v31, v39, 2.0, v32 op_sel_hi:[1,0,1] neg_lo:[0,0,1] neg_hi:[0,0,1]
	v_fma_f16 v33, v61, 2.0, -v34
	v_fma_f16 v59, v62, 2.0, -v60
	s_barrier
	ds_write_b64 v35, v[31:32]
	v_pk_fma_f16 v37, v40, 2.0, v38 op_sel_hi:[1,0,1] neg_lo:[0,0,1] neg_hi:[0,0,1]
	v_pk_fma_f16 v35, v64, 2.0, v36 op_sel_hi:[1,0,1] neg_lo:[0,0,1] neg_hi:[0,0,1]
	ds_write_b64 v65, v[37:38]
	ds_write_b64 v63, v[35:36]
	s_and_saveexec_b64 s[4:5], s[0:1]
	s_cbranch_execz .LBB0_17
; %bb.16:
	s_mov_b32 s6, 0x5040100
	v_perm_b32 v40, v60, v34, s6
	v_perm_b32 v39, v59, v33, s6
	ds_write_b64 v50, v[39:40]
.LBB0_17:
	s_or_b64 exec, exec, s[4:5]
	v_lshrrev_b32_e32 v50, 16, v37
	v_lshrrev_b32_e32 v40, 16, v35
	v_lshrrev_b32_e32 v39, 16, v31
	s_waitcnt lgkmcnt(0)
	s_barrier
	s_and_saveexec_b64 s[4:5], s[2:3]
	s_cbranch_execz .LBB0_19
; %bb.18:
	v_add_u32_e32 v25, 0x200, v41
	ds_read2_b32 v[37:38], v25 offset0:68 offset1:166
	v_add_u32_e32 v25, 0x400, v41
	ds_read2_b32 v[35:36], v25 offset0:136 offset1:234
	;; [unrolled: 2-line block ×4, first 2 shown]
	v_add_u32_e32 v25, 0xe00, v41
	ds_read2_b32 v[31:32], v41 offset1:98
	ds_read2_b32 v[25:26], v25 offset0:84 offset1:182
	ds_read_b32 v57, v41 offset:4704
	s_waitcnt lgkmcnt(6)
	v_lshrrev_b32_e32 v50, 16, v37
	s_waitcnt lgkmcnt(5)
	v_lshrrev_b32_e32 v40, 16, v35
	;; [unrolled: 2-line block ×3, first 2 shown]
	v_lshrrev_b32_e32 v59, 16, v33
	v_lshrrev_b32_e32 v60, 16, v34
	;; [unrolled: 1-line block ×4, first 2 shown]
	s_waitcnt lgkmcnt(1)
	v_lshrrev_b32_e32 v55, 16, v25
	v_lshrrev_b32_e32 v56, 16, v26
	s_waitcnt lgkmcnt(0)
	v_lshrrev_b32_e32 v58, 16, v57
.LBB0_19:
	s_or_b64 exec, exec, s[4:5]
	s_barrier
	s_and_saveexec_b64 s[4:5], s[2:3]
	s_cbranch_execz .LBB0_21
; %bb.20:
	v_lshrrev_b32_e32 v61, 16, v32
	v_mul_f16_sdwa v62, v4, v61 dst_sel:DWORD dst_unused:UNUSED_PAD src0_sel:WORD_1 src1_sel:DWORD
	v_fma_f16 v62, v4, v32, v62
	v_mul_f16_sdwa v63, v11, v58 dst_sel:DWORD dst_unused:UNUSED_PAD src0_sel:WORD_1 src1_sel:DWORD
	v_mul_f16_sdwa v32, v4, v32 dst_sel:DWORD dst_unused:UNUSED_PAD src0_sel:WORD_1 src1_sel:DWORD
	v_fma_f16 v63, v11, v57, v63
	v_mul_f16_sdwa v57, v11, v57 dst_sel:DWORD dst_unused:UNUSED_PAD src0_sel:WORD_1 src1_sel:DWORD
	v_fma_f16 v4, v4, v61, -v32
	v_mul_f16_sdwa v61, v10, v56 dst_sel:DWORD dst_unused:UNUSED_PAD src0_sel:WORD_1 src1_sel:DWORD
	v_fma_f16 v11, v11, v58, -v57
	v_mul_f16_sdwa v58, v5, v50 dst_sel:DWORD dst_unused:UNUSED_PAD src0_sel:WORD_1 src1_sel:DWORD
	v_fma_f16 v61, v10, v26, v61
	v_mul_f16_sdwa v26, v10, v26 dst_sel:DWORD dst_unused:UNUSED_PAD src0_sel:WORD_1 src1_sel:DWORD
	v_sub_f16_e32 v64, v62, v63
	v_fma_f16 v58, v5, v37, v58
	v_fma_f16 v10, v10, v56, -v26
	v_mul_f16_sdwa v26, v5, v37 dst_sel:DWORD dst_unused:UNUSED_PAD src0_sel:WORD_1 src1_sel:DWORD
	v_mul_f16_e32 v65, 0xb3a8, v64
	v_add_f16_e32 v32, v11, v4
	s_mov_b32 s2, 0xbbc4
	v_sub_f16_e32 v66, v58, v61
	v_fma_f16 v5, v5, v50, -v26
	v_fma_f16 v57, v32, s2, v65
	v_mul_f16_e32 v67, 0x3770, v66
	v_add_f16_e32 v26, v10, v5
	s_movk_i32 s6, 0x3b15
	v_add_f16_e32 v57, v39, v57
	v_fma_f16 v37, v26, s6, v67
	v_add_f16_e32 v37, v37, v57
	v_lshrrev_b32_e32 v50, 16, v38
	v_mul_f16_sdwa v57, v9, v55 dst_sel:DWORD dst_unused:UNUSED_PAD src0_sel:WORD_1 src1_sel:DWORD
	v_mul_f16_sdwa v56, v6, v50 dst_sel:DWORD dst_unused:UNUSED_PAD src0_sel:WORD_1 src1_sel:DWORD
	v_fma_f16 v57, v9, v25, v57
	v_mul_f16_sdwa v25, v9, v25 dst_sel:DWORD dst_unused:UNUSED_PAD src0_sel:WORD_1 src1_sel:DWORD
	v_fma_f16 v56, v6, v38, v56
	v_fma_f16 v9, v9, v55, -v25
	v_mul_f16_sdwa v25, v6, v38 dst_sel:DWORD dst_unused:UNUSED_PAD src0_sel:WORD_1 src1_sel:DWORD
	v_sub_f16_e32 v68, v56, v57
	v_fma_f16 v6, v6, v50, -v25
	v_mul_f16_e32 v69, 0xb94e, v68
	v_add_f16_e32 v25, v9, v6
	s_mov_b32 s7, 0xb9fd
	v_fma_f16 v38, v25, s7, v69
	v_mul_f16_sdwa v50, v8, v54 dst_sel:DWORD dst_unused:UNUSED_PAD src0_sel:WORD_1 src1_sel:DWORD
	v_add_f16_e32 v37, v38, v37
	v_mul_f16_sdwa v38, v7, v40 dst_sel:DWORD dst_unused:UNUSED_PAD src0_sel:WORD_1 src1_sel:DWORD
	v_fma_f16 v50, v8, v28, v50
	v_mul_f16_sdwa v28, v8, v28 dst_sel:DWORD dst_unused:UNUSED_PAD src0_sel:WORD_1 src1_sel:DWORD
	v_fma_f16 v38, v7, v35, v38
	v_fma_f16 v8, v8, v54, -v28
	v_mul_f16_sdwa v28, v7, v35 dst_sel:DWORD dst_unused:UNUSED_PAD src0_sel:WORD_1 src1_sel:DWORD
	v_sub_f16_e32 v55, v38, v50
	v_fma_f16 v7, v7, v40, -v28
	v_mul_f16_e32 v70, 0x3a95, v55
	v_add_f16_e32 v28, v8, v7
	s_movk_i32 s16, 0x388b
	v_fma_f16 v35, v28, s16, v70
	v_add_f16_e32 v35, v35, v37
	v_lshrrev_b32_e32 v37, 16, v36
	v_mul_f16_sdwa v54, v3, v53 dst_sel:DWORD dst_unused:UNUSED_PAD src0_sel:WORD_1 src1_sel:DWORD
	v_mul_f16_sdwa v40, v0, v37 dst_sel:DWORD dst_unused:UNUSED_PAD src0_sel:WORD_1 src1_sel:DWORD
	v_fma_f16 v54, v3, v27, v54
	v_mul_f16_sdwa v27, v3, v27 dst_sel:DWORD dst_unused:UNUSED_PAD src0_sel:WORD_1 src1_sel:DWORD
	v_fma_f16 v40, v0, v36, v40
	v_fma_f16 v3, v3, v53, -v27
	v_mul_f16_sdwa v27, v0, v36 dst_sel:DWORD dst_unused:UNUSED_PAD src0_sel:WORD_1 src1_sel:DWORD
	v_sub_f16_e32 v71, v40, v54
	v_fma_f16 v0, v0, v37, -v27
	v_mul_f16_e32 v72, 0xbb7b, v71
	v_add_f16_e32 v27, v3, v0
	s_mov_b32 s17, 0xb5ac
	v_fma_f16 v36, v27, s17, v72
	v_add_f16_e32 v35, v36, v35
	v_mul_f16_sdwa v36, v1, v59 dst_sel:DWORD dst_unused:UNUSED_PAD src0_sel:WORD_1 src1_sel:DWORD
	v_mul_f16_sdwa v37, v2, v60 dst_sel:DWORD dst_unused:UNUSED_PAD src0_sel:WORD_1 src1_sel:DWORD
	v_fma_f16 v36, v1, v33, v36
	v_fma_f16 v37, v2, v34, v37
	v_mul_f16_sdwa v34, v2, v34 dst_sel:DWORD dst_unused:UNUSED_PAD src0_sel:WORD_1 src1_sel:DWORD
	v_mul_f16_sdwa v33, v1, v33 dst_sel:DWORD dst_unused:UNUSED_PAD src0_sel:WORD_1 src1_sel:DWORD
	v_sub_f16_e32 v53, v36, v37
	v_fma_f16 v2, v2, v60, -v34
	v_fma_f16 v1, v1, v59, -v33
	v_mul_f16_e32 v73, 0x3bf1, v53
	v_add_f16_e32 v33, v2, v1
	s_movk_i32 s19, 0x2fb7
	v_fma_f16 v34, v33, s19, v73
	v_sub_f16_e32 v59, v4, v11
	v_add_f16_e32 v34, v34, v35
	v_add_f16_e32 v35, v63, v62
	v_mul_f16_e32 v60, 0xb3a8, v59
	v_sub_f16_e32 v76, v5, v10
	v_fma_f16 v65, v32, s2, -v65
	v_fma_f16 v74, v35, s2, -v60
	v_add_f16_e32 v75, v61, v58
	v_mul_f16_e32 v77, 0x3770, v76
	v_add_f16_e32 v65, v39, v65
	v_fma_f16 v67, v26, s6, -v67
	v_add_f16_e32 v74, v31, v74
	v_fma_f16 v78, v75, s6, -v77
	v_sub_f16_e32 v79, v6, v9
	v_add_f16_e32 v65, v67, v65
	v_fma_f16 v67, v25, s7, -v69
	v_add_f16_e32 v74, v78, v74
	v_add_f16_e32 v78, v57, v56
	v_mul_f16_e32 v80, 0xb94e, v79
	v_add_f16_e32 v65, v67, v65
	v_fma_f16 v67, v28, s16, -v70
	v_fma_f16 v81, v78, s7, -v80
	v_sub_f16_e32 v82, v7, v8
	v_add_f16_e32 v65, v67, v65
	v_fma_f16 v67, v27, s17, -v72
	v_add_f16_e32 v74, v81, v74
	v_add_f16_e32 v81, v50, v38
	v_mul_f16_e32 v83, 0x3a95, v82
	v_add_f16_e32 v65, v67, v65
	v_fma_f16 v67, v33, s19, -v73
	v_fma_f16 v60, v35, s2, v60
	v_fma_f16 v84, v81, s16, -v83
	v_sub_f16_e32 v85, v0, v3
	v_add_f16_e32 v65, v67, v65
	v_add_f16_e32 v60, v31, v60
	v_fma_f16 v67, v75, s6, v77
	v_add_f16_e32 v74, v84, v74
	v_add_f16_e32 v84, v54, v40
	v_mul_f16_e32 v86, 0xbb7b, v85
	v_add_f16_e32 v60, v67, v60
	v_fma_f16 v67, v78, s7, v80
	v_fma_f16 v87, v84, s17, -v86
	v_sub_f16_e32 v88, v1, v2
	v_add_f16_e32 v60, v67, v60
	v_fma_f16 v67, v81, s16, v83
	v_add_f16_e32 v74, v87, v74
	v_add_f16_e32 v87, v37, v36
	v_mul_f16_e32 v89, 0x3bf1, v88
	v_add_f16_e32 v60, v67, v60
	v_fma_f16 v67, v84, s17, v86
	v_add_f16_e32 v60, v67, v60
	v_fma_f16 v67, v87, s19, v89
	v_add_f16_e32 v60, v67, v60
	v_mul_f16_e32 v67, 0xb9fd, v32
	s_movk_i32 s24, 0x394e
	v_fma_f16 v69, v64, s24, v67
	v_mul_f16_e32 v70, 0x2fb7, v26
	s_mov_b32 s22, 0xbbf1
	v_add_f16_e32 v69, v39, v69
	v_fma_f16 v72, v66, s22, v70
	s_movk_i32 s21, 0x3a95
	v_add_f16_e32 v69, v72, v69
	v_mul_f16_e32 v72, 0x388b, v25
	v_fma_f16 v73, v68, s21, v72
	s_mov_b32 s3, 0xb3a8
	v_add_f16_e32 v69, v73, v69
	v_mul_f16_e32 v73, 0xbbc4, v28
	v_fma_f16 v77, v55, s3, v73
	v_add_f16_e32 v69, v77, v69
	v_mul_f16_e32 v77, 0x3b15, v27
	s_mov_b32 s23, 0xb770
	v_fma_f16 v80, v71, s23, v77
	v_add_f16_e32 v69, v80, v69
	v_mul_f16_e32 v80, 0xb5ac, v33
	s_movk_i32 s26, 0x3b7b
	v_fma_f16 v83, v53, s26, v80
	v_add_f16_e32 v69, v83, v69
	v_mul_f16_e32 v83, 0xb94e, v59
	v_fma_f16 v90, v87, s19, -v89
	v_fma_f16 v86, v35, s7, v83
	v_mul_f16_e32 v89, 0x3bf1, v76
	v_add_f16_e32 v74, v90, v74
	v_add_f16_e32 v86, v31, v86
	v_fma_f16 v90, v75, s19, v89
	v_add_f16_e32 v86, v90, v86
	v_mul_f16_e32 v90, 0xba95, v79
	v_fma_f16 v91, v78, s16, v90
	v_add_f16_e32 v86, v91, v86
	v_mul_f16_e32 v91, 0x33a8, v82
	;; [unrolled: 3-line block ×5, first 2 shown]
	s_mov_b32 s14, 0xb94e
	v_fma_f16 v95, v64, s26, v94
	v_mul_f16_e32 v96, 0xb9fd, v26
	v_add_f16_e32 v95, v39, v95
	v_fma_f16 v97, v66, s14, v96
	v_add_f16_e32 v95, v97, v95
	v_mul_f16_e32 v97, 0x3b15, v25
	v_fma_f16 v98, v68, s23, v97
	s_movk_i32 s20, 0x3bf1
	v_add_f16_e32 v95, v98, v95
	v_mul_f16_e32 v98, 0x2fb7, v28
	v_fma_f16 v99, v55, s20, v98
	v_add_f16_e32 v95, v99, v95
	v_mul_f16_e32 v99, 0xbbc4, v27
	v_fma_f16 v100, v71, s3, v99
	s_mov_b32 s25, 0xba95
	v_add_f16_e32 v95, v100, v95
	v_mul_f16_e32 v100, 0x388b, v33
	v_fma_f16 v101, v53, s25, v100
	v_add_f16_e32 v95, v101, v95
	v_mul_f16_e32 v101, 0xbb7b, v59
	v_fma_f16 v102, v35, s17, v101
	v_mul_f16_e32 v103, 0x394e, v76
	v_add_f16_e32 v102, v31, v102
	v_fma_f16 v104, v75, s7, v103
	v_add_f16_e32 v4, v4, v39
	v_add_f16_e32 v102, v104, v102
	v_mul_f16_e32 v104, 0x3770, v79
	v_add_f16_e32 v4, v5, v4
	v_fma_f16 v105, v78, s6, v104
	v_add_f16_e32 v4, v6, v4
	v_add_f16_e32 v102, v105, v102
	;; [unrolled: 5-line block ×3, first 2 shown]
	v_mul_f16_e32 v106, 0x33a8, v85
	v_add_f16_e32 v0, v1, v0
	v_fma_f16 v1, v64, s14, v67
	v_fma_f16 v107, v84, s2, v106
	v_add_f16_e32 v0, v2, v0
	v_add_f16_e32 v1, v39, v1
	v_fma_f16 v2, v66, s20, v70
	s_movk_i32 s27, 0x33a8
	v_add_f16_e32 v102, v107, v102
	v_mul_f16_e32 v107, 0x3a95, v88
	v_add_f16_e32 v1, v2, v1
	v_fma_f16 v2, v68, s25, v72
	s_movk_i32 s15, 0x3770
	v_fma_f16 v108, v87, s16, v107
	v_add_f16_e32 v1, v2, v1
	v_fma_f16 v2, v55, s27, v73
	s_mov_b32 s18, 0xbb7b
	v_add_f16_e32 v102, v108, v102
	v_mul_f16_e32 v108, 0x2fb7, v32
	v_add_f16_e32 v1, v2, v1
	v_fma_f16 v2, v71, s15, v77
	v_fma_f16 v109, v64, s20, v108
	v_mul_f16_e32 v110, 0xbbc4, v26
	v_add_f16_e32 v1, v2, v1
	v_fma_f16 v2, v53, s18, v80
	v_add_f16_e32 v109, v39, v109
	v_fma_f16 v111, v66, s27, v110
	v_add_f16_e32 v1, v2, v1
	v_fma_f16 v2, v35, s7, -v83
	v_add_f16_e32 v109, v111, v109
	v_mul_f16_e32 v111, 0xb5ac, v25
	v_add_f16_e32 v0, v3, v0
	v_add_f16_e32 v2, v31, v2
	v_fma_f16 v3, v75, s19, -v89
	v_fma_f16 v112, v68, s18, v111
	v_add_f16_e32 v2, v3, v2
	v_fma_f16 v3, v78, s16, -v90
	v_add_f16_e32 v109, v112, v109
	v_mul_f16_e32 v112, 0x3b15, v28
	v_add_f16_e32 v2, v3, v2
	v_fma_f16 v3, v81, s2, -v91
	v_fma_f16 v113, v55, s23, v112
	v_add_f16_e32 v2, v3, v2
	v_fma_f16 v3, v84, s6, -v92
	v_add_f16_e32 v109, v113, v109
	v_mul_f16_e32 v113, 0x388b, v27
	v_add_f16_e32 v2, v3, v2
	v_fma_f16 v3, v87, s17, -v93
	v_fma_f16 v114, v71, s21, v113
	v_add_f16_e32 v2, v3, v2
	v_fma_f16 v3, v64, s18, v94
	v_add_f16_e32 v109, v114, v109
	v_mul_f16_e32 v114, 0xb9fd, v33
	v_add_f16_e32 v3, v39, v3
	v_fma_f16 v4, v66, s24, v96
	v_fma_f16 v115, v53, s24, v114
	v_add_f16_e32 v3, v4, v3
	v_fma_f16 v4, v68, s15, v97
	v_add_f16_e32 v109, v115, v109
	v_mul_f16_e32 v115, 0xbbf1, v59
	v_add_f16_e32 v3, v4, v3
	v_fma_f16 v4, v55, s22, v98
	v_fma_f16 v116, v35, s19, v115
	v_mul_f16_e32 v117, 0xb3a8, v76
	v_add_f16_e32 v3, v4, v3
	v_fma_f16 v4, v71, s27, v99
	v_add_f16_e32 v116, v31, v116
	v_fma_f16 v118, v75, s2, v117
	;; [unrolled: 2-line block ×3, first 2 shown]
	v_add_f16_e32 v116, v118, v116
	v_mul_f16_e32 v118, 0x3b7b, v79
	v_add_f16_e32 v3, v4, v3
	v_fma_f16 v4, v35, s17, -v101
	v_fma_f16 v119, v78, s17, v118
	v_add_f16_e32 v4, v31, v4
	v_fma_f16 v5, v75, s7, -v103
	v_add_f16_e32 v116, v119, v116
	v_mul_f16_e32 v119, 0x3770, v82
	v_add_f16_e32 v4, v5, v4
	v_fma_f16 v5, v78, s6, -v104
	v_fma_f16 v120, v81, s6, v119
	v_add_f16_e32 v4, v5, v4
	v_fma_f16 v5, v81, s19, -v105
	v_add_f16_e32 v116, v120, v116
	v_mul_f16_e32 v120, 0xba95, v85
	v_add_f16_e32 v4, v5, v4
	v_fma_f16 v5, v84, s2, -v106
	v_fma_f16 v121, v84, s16, v120
	v_add_f16_e32 v4, v5, v4
	v_fma_f16 v5, v87, s16, -v107
	v_add_f16_e32 v116, v121, v116
	v_mul_f16_e32 v121, 0xb94e, v88
	v_add_f16_e32 v4, v5, v4
	v_fma_f16 v5, v64, s22, v108
	v_fma_f16 v122, v87, s7, v121
	v_add_f16_e32 v5, v39, v5
	v_fma_f16 v6, v66, s3, v110
	v_add_f16_e32 v116, v122, v116
	v_mul_f16_e32 v122, 0x388b, v32
	v_add_f16_e32 v5, v6, v5
	v_fma_f16 v6, v68, s26, v111
	v_fma_f16 v123, v64, s21, v122
	v_mul_f16_e32 v124, 0xb5ac, v26
	v_add_f16_e32 v5, v6, v5
	v_fma_f16 v6, v55, s15, v112
	v_add_f16_e32 v123, v39, v123
	v_fma_f16 v125, v66, s26, v124
	;; [unrolled: 2-line block ×3, first 2 shown]
	v_add_f16_e32 v123, v125, v123
	v_mul_f16_e32 v125, 0xbbc4, v25
	v_add_f16_e32 v5, v6, v5
	v_fma_f16 v6, v53, s14, v114
	v_fma_f16 v126, v68, s27, v125
	v_add_f16_e32 v5, v6, v5
	v_fma_f16 v6, v35, s19, -v115
	v_add_f16_e32 v123, v126, v123
	v_mul_f16_e32 v126, 0xb9fd, v28
	v_add_f16_e32 v6, v31, v6
	v_fma_f16 v7, v75, s2, -v117
	v_fma_f16 v127, v55, s14, v126
	v_add_f16_e32 v6, v7, v6
	v_fma_f16 v7, v78, s17, -v118
	v_add_f16_e32 v123, v127, v123
	v_mul_f16_e32 v127, 0x2fb7, v27
	v_add_f16_e32 v6, v7, v6
	v_fma_f16 v7, v81, s6, -v119
	;; [unrolled: 7-line block ×3, first 2 shown]
	v_fma_f16 v129, v53, s23, v128
	v_add_f16_e32 v6, v7, v6
	v_fma_f16 v7, v64, s25, v122
	v_add_f16_e32 v123, v129, v123
	v_mul_f16_e32 v129, 0xba95, v59
	v_add_f16_e32 v0, v8, v0
	v_add_f16_e32 v7, v39, v7
	v_fma_f16 v8, v66, s18, v124
	v_fma_f16 v130, v35, s16, v129
	v_mul_f16_e32 v131, 0xbb7b, v76
	v_add_f16_e32 v7, v8, v7
	v_fma_f16 v8, v68, s3, v125
	v_add_f16_e32 v130, v31, v130
	v_fma_f16 v132, v75, s17, v131
	v_add_f16_e32 v7, v8, v7
	v_fma_f16 v8, v55, s24, v126
	v_add_f16_e32 v130, v132, v130
	v_mul_f16_e32 v132, 0xb3a8, v79
	v_add_f16_e32 v7, v8, v7
	v_fma_f16 v8, v71, s20, v127
	v_fma_f16 v133, v78, s2, v132
	v_add_f16_e32 v7, v8, v7
	v_fma_f16 v8, v53, s15, v128
	v_add_f16_e32 v130, v133, v130
	v_mul_f16_e32 v133, 0x394e, v82
	v_add_f16_e32 v7, v8, v7
	v_fma_f16 v8, v35, s16, -v129
	v_fma_f16 v134, v81, s7, v133
	v_add_f16_e32 v0, v9, v0
	v_add_f16_e32 v8, v31, v8
	v_fma_f16 v9, v75, s17, -v131
	v_add_f16_e32 v130, v134, v130
	v_mul_f16_e32 v134, 0x3bf1, v85
	v_add_f16_e32 v8, v9, v8
	v_fma_f16 v9, v78, s2, -v132
	v_fma_f16 v135, v84, s19, v134
	v_add_f16_e32 v8, v9, v8
	v_fma_f16 v9, v81, s7, -v133
	v_add_f16_e32 v130, v135, v130
	v_mul_f16_e32 v135, 0x3770, v88
	v_add_f16_e32 v8, v9, v8
	v_fma_f16 v9, v84, s19, -v134
	v_mul_f16_e32 v32, 0x3b15, v32
	v_add_f16_e32 v8, v9, v8
	v_fma_f16 v9, v87, s6, -v135
	v_fma_f16 v136, v87, s6, v135
	v_mul_f16_e32 v26, 0x388b, v26
	v_add_f16_e32 v8, v9, v8
	v_fma_f16 v9, v64, s23, v32
	v_add_f16_e32 v130, v136, v130
	v_fma_f16 v136, v64, s15, v32
	v_mul_f16_e32 v25, 0x2fb7, v25
	v_add_f16_e32 v0, v10, v0
	v_add_f16_e32 v9, v39, v9
	v_fma_f16 v10, v66, s25, v26
	v_add_f16_e32 v136, v39, v136
	v_fma_f16 v137, v66, s21, v26
	v_mul_f16_e32 v28, 0xb5ac, v28
	v_add_f16_e32 v62, v31, v62
	;; [unrolled: 6-line block ×6, first 2 shown]
	v_add_f16_e32 v9, v10, v9
	v_fma_f16 v10, v35, s6, -v59
	v_add_f16_e32 v136, v137, v136
	v_fma_f16 v137, v35, s6, v59
	v_mul_f16_e32 v79, 0xbbf1, v79
	v_add_f16_e32 v36, v36, v38
	v_add_f16_e32 v0, v11, v0
	v_add_f16_e32 v10, v31, v10
	v_fma_f16 v11, v75, s16, -v76
	v_add_f16_e32 v137, v31, v137
	v_fma_f16 v138, v75, s16, v76
	v_mul_f16_e32 v82, 0xbb7b, v82
	v_add_f16_e32 v36, v37, v36
	v_add_f16_e32 v10, v11, v10
	v_fma_f16 v11, v78, s19, -v79
	v_add_f16_e32 v137, v138, v137
	v_fma_f16 v138, v78, s19, v79
	v_mul_f16_e32 v85, 0xb94e, v85
	v_add_f16_e32 v36, v54, v36
	v_add_f16_e32 v10, v11, v10
	v_fma_f16 v11, v81, s17, -v82
	v_add_f16_e32 v137, v138, v137
	v_fma_f16 v138, v81, s17, v82
	v_mul_f16_e32 v88, 0xb3a8, v88
	v_add_f16_e32 v36, v50, v36
	v_add_f16_e32 v10, v11, v10
	v_fma_f16 v11, v84, s7, -v85
	v_add_f16_e32 v137, v138, v137
	v_fma_f16 v138, v84, s7, v85
	v_add_f16_e32 v36, v57, v36
	v_add_f16_e32 v10, v11, v10
	v_fma_f16 v11, v87, s2, -v88
	v_add_f16_e32 v137, v138, v137
	v_fma_f16 v138, v87, s2, v88
	v_add_f16_e32 v36, v61, v36
	v_add_f16_e32 v10, v11, v10
	v_mul_u32_u24_e32 v11, 26, v51
	v_add_f16_e32 v137, v138, v137
	v_add_f16_e32 v36, v63, v36
	v_or_b32_e32 v11, v11, v49
	v_lshlrev_b32_e32 v11, 2, v11
	v_pack_b32_f16 v0, v36, v0
	v_pack_b32_f16 v25, v137, v136
	ds_write2_b32 v11, v0, v25 offset1:2
	v_pack_b32_f16 v0, v130, v123
	v_pack_b32_f16 v25, v116, v109
	ds_write2_b32 v11, v0, v25 offset0:4 offset1:6
	v_pack_b32_f16 v0, v102, v95
	v_pack_b32_f16 v25, v86, v69
	ds_write2_b32 v11, v0, v25 offset0:8 offset1:10
	;; [unrolled: 3-line block ×5, first 2 shown]
	v_pack_b32_f16 v0, v10, v9
	ds_write_b32 v11, v0 offset:96
.LBB0_21:
	s_or_b64 exec, exec, s[4:5]
	s_waitcnt lgkmcnt(0)
	s_barrier
	ds_read2_b32 v[0:1], v41 offset1:182
	v_add_u32_e32 v6, 0x500, v41
	ds_read2_b32 v[2:3], v6 offset0:44 offset1:226
	v_add_u32_e32 v7, 0xb00, v41
	ds_read2_b32 v[4:5], v7 offset0:24 offset1:206
	s_waitcnt lgkmcnt(2)
	v_lshrrev_b32_e32 v8, 16, v1
	ds_read_b32 v9, v41 offset:4368
	v_mul_f16_sdwa v28, v12, v8 dst_sel:DWORD dst_unused:UNUSED_PAD src0_sel:WORD_1 src1_sel:DWORD
	s_waitcnt lgkmcnt(2)
	v_lshrrev_b32_e32 v10, 16, v2
	v_fma_f16 v28, v12, v1, v28
	v_mul_f16_sdwa v1, v12, v1 dst_sel:DWORD dst_unused:UNUSED_PAD src0_sel:WORD_1 src1_sel:DWORD
	v_fma_f16 v1, v12, v8, -v1
	v_mul_f16_sdwa v8, v13, v10 dst_sel:DWORD dst_unused:UNUSED_PAD src0_sel:WORD_1 src1_sel:DWORD
	v_lshrrev_b32_e32 v11, 16, v3
	v_fma_f16 v8, v13, v2, v8
	v_mul_f16_sdwa v2, v13, v2 dst_sel:DWORD dst_unused:UNUSED_PAD src0_sel:WORD_1 src1_sel:DWORD
	s_waitcnt lgkmcnt(1)
	v_lshrrev_b32_e32 v26, 16, v5
	s_waitcnt lgkmcnt(0)
	v_lshrrev_b32_e32 v27, 16, v9
	v_fma_f16 v2, v13, v10, -v2
	v_mul_f16_sdwa v10, v14, v11 dst_sel:DWORD dst_unused:UNUSED_PAD src0_sel:WORD_1 src1_sel:DWORD
	v_lshrrev_b32_e32 v25, 16, v4
	v_fma_f16 v10, v14, v3, v10
	v_mul_f16_sdwa v3, v14, v3 dst_sel:DWORD dst_unused:UNUSED_PAD src0_sel:WORD_1 src1_sel:DWORD
	v_mul_f16_sdwa v12, v23, v26 dst_sel:DWORD dst_unused:UNUSED_PAD src0_sel:WORD_1 src1_sel:DWORD
	;; [unrolled: 1-line block ×3, first 2 shown]
	v_fma_f16 v3, v14, v11, -v3
	v_mul_f16_sdwa v11, v15, v25 dst_sel:DWORD dst_unused:UNUSED_PAD src0_sel:WORD_1 src1_sel:DWORD
	v_fma_f16 v12, v23, v5, v12
	v_mul_f16_sdwa v5, v23, v5 dst_sel:DWORD dst_unused:UNUSED_PAD src0_sel:WORD_1 src1_sel:DWORD
	v_fma_f16 v13, v24, v9, v13
	;; [unrolled: 2-line block ×3, first 2 shown]
	v_mul_f16_sdwa v4, v15, v4 dst_sel:DWORD dst_unused:UNUSED_PAD src0_sel:WORD_1 src1_sel:DWORD
	v_fma_f16 v5, v23, v26, -v5
	v_fma_f16 v9, v24, v27, -v9
	;; [unrolled: 1-line block ×3, first 2 shown]
	v_add_f16_e32 v14, v28, v13
	v_add_f16_e32 v15, v1, v9
	v_sub_f16_e32 v1, v1, v9
	v_add_f16_e32 v9, v8, v12
	v_add_f16_e32 v23, v2, v5
	v_sub_f16_e32 v8, v8, v12
	v_sub_f16_e32 v2, v2, v5
	v_add_f16_e32 v5, v10, v11
	v_add_f16_e32 v12, v3, v4
	v_sub_f16_e32 v10, v11, v10
	;; [unrolled: 4-line block ×3, first 2 shown]
	v_sub_f16_e32 v24, v9, v14
	v_sub_f16_e32 v25, v23, v15
	;; [unrolled: 1-line block ×6, first 2 shown]
	v_add_f16_e32 v26, v10, v8
	v_add_f16_e32 v27, v3, v2
	v_sub_f16_e32 v28, v10, v8
	v_sub_f16_e32 v31, v3, v2
	v_add_f16_e32 v4, v5, v4
	v_add_f16_e32 v5, v12, v11
	v_sub_f16_e32 v10, v13, v10
	v_sub_f16_e32 v3, v1, v3
	;; [unrolled: 1-line block ×4, first 2 shown]
	v_add_f16_e32 v11, v26, v13
	v_add_f16_e32 v1, v27, v1
	;; [unrolled: 1-line block ×3, first 2 shown]
	v_add_f16_sdwa v0, v0, v5 dst_sel:DWORD dst_unused:UNUSED_PAD src0_sel:WORD_1 src1_sel:DWORD
	v_mul_f16_e32 v13, 0x3a52, v14
	v_mul_f16_e32 v14, 0x3a52, v15
	s_movk_i32 s2, 0x2b26
	v_mul_f16_e32 v15, 0x2b26, v9
	v_mul_f16_e32 v26, 0x2b26, v23
	;; [unrolled: 1-line block ×4, first 2 shown]
	s_mov_b32 s4, 0xbcab
	s_movk_i32 s5, 0x39e0
	s_mov_b32 s6, 0xb9e0
	s_mov_b32 s7, 0xb574
	;; [unrolled: 1-line block ×3, first 2 shown]
	v_mul_f16_e32 v31, 0xbb00, v8
	v_mul_f16_e32 v32, 0xbb00, v2
	v_fma_f16 v4, v4, s4, v12
	v_fma_f16 v5, v5, s4, v0
	;; [unrolled: 1-line block ×4, first 2 shown]
	v_fma_f16 v15, v24, s5, -v15
	v_fma_f16 v26, v25, s5, -v26
	;; [unrolled: 1-line block ×4, first 2 shown]
	v_fma_f16 v24, v10, s7, v27
	v_fma_f16 v25, v3, s7, v28
	s_movk_i32 s14, 0x3574
	s_mov_b32 s15, 0xb70e
	v_fma_f16 v8, v8, s3, -v27
	v_fma_f16 v2, v2, s3, -v28
	;; [unrolled: 1-line block ×4, first 2 shown]
	v_add_f16_e32 v9, v9, v4
	v_add_f16_e32 v23, v23, v5
	;; [unrolled: 1-line block ×6, first 2 shown]
	v_fma_f16 v13, v11, s15, v24
	v_fma_f16 v14, v1, s15, v25
	;; [unrolled: 1-line block ×6, first 2 shown]
	v_add_f16_e32 v3, v14, v9
	v_sub_f16_e32 v11, v23, v13
	v_add_f16_e32 v24, v1, v4
	v_sub_f16_e32 v25, v5, v10
	v_sub_f16_e32 v27, v15, v2
	v_add_f16_e32 v28, v8, v26
	v_pack_b32_f16 v0, v12, v0
	v_pack_b32_f16 v3, v3, v11
	v_add_f16_e32 v2, v2, v15
	v_sub_f16_e32 v8, v26, v8
	v_sub_f16_e32 v1, v4, v1
	v_add_f16_e32 v4, v10, v5
	s_barrier
	ds_write2_b32 v52, v0, v3 offset1:26
	v_pack_b32_f16 v0, v24, v25
	v_pack_b32_f16 v3, v27, v28
	v_sub_f16_e32 v5, v9, v14
	v_add_f16_e32 v9, v13, v23
	ds_write2_b32 v52, v0, v3 offset0:52 offset1:78
	v_pack_b32_f16 v0, v2, v8
	v_pack_b32_f16 v1, v1, v4
	ds_write2_b32 v52, v0, v1 offset0:104 offset1:130
	v_pack_b32_f16 v0, v5, v9
	ds_write_b32 v52, v0 offset:624
	s_waitcnt lgkmcnt(0)
	s_barrier
	ds_read2_b32 v[0:1], v41 offset1:182
	ds_read2_b32 v[2:3], v6 offset0:44 offset1:226
	ds_read2_b32 v[4:5], v7 offset0:24 offset1:206
	ds_read_b32 v9, v41 offset:4368
	s_movk_i32 s16, 0x40f
	s_waitcnt lgkmcnt(3)
	v_lshrrev_b32_e32 v8, 16, v1
	v_mul_f16_sdwa v15, v16, v8 dst_sel:DWORD dst_unused:UNUSED_PAD src0_sel:WORD_1 src1_sel:DWORD
	s_waitcnt lgkmcnt(2)
	v_lshrrev_b32_e32 v10, 16, v2
	v_fma_f16 v15, v16, v1, v15
	v_mul_f16_sdwa v1, v16, v1 dst_sel:DWORD dst_unused:UNUSED_PAD src0_sel:WORD_1 src1_sel:DWORD
	v_fma_f16 v1, v16, v8, -v1
	v_mul_f16_sdwa v8, v17, v10 dst_sel:DWORD dst_unused:UNUSED_PAD src0_sel:WORD_1 src1_sel:DWORD
	v_lshrrev_b32_e32 v11, 16, v3
	v_fma_f16 v8, v17, v2, v8
	v_mul_f16_sdwa v2, v17, v2 dst_sel:DWORD dst_unused:UNUSED_PAD src0_sel:WORD_1 src1_sel:DWORD
	v_fma_f16 v2, v17, v10, -v2
	v_mul_f16_sdwa v10, v18, v11 dst_sel:DWORD dst_unused:UNUSED_PAD src0_sel:WORD_1 src1_sel:DWORD
	s_waitcnt lgkmcnt(1)
	v_lshrrev_b32_e32 v12, 16, v4
	v_fma_f16 v10, v18, v3, v10
	v_mul_f16_sdwa v3, v18, v3 dst_sel:DWORD dst_unused:UNUSED_PAD src0_sel:WORD_1 src1_sel:DWORD
	v_fma_f16 v3, v18, v11, -v3
	v_mul_f16_sdwa v11, v19, v12 dst_sel:DWORD dst_unused:UNUSED_PAD src0_sel:WORD_1 src1_sel:DWORD
	v_lshrrev_b32_e32 v13, 16, v5
	v_fma_f16 v11, v19, v4, v11
	v_mul_f16_sdwa v4, v19, v4 dst_sel:DWORD dst_unused:UNUSED_PAD src0_sel:WORD_1 src1_sel:DWORD
	v_fma_f16 v4, v19, v12, -v4
	v_mul_f16_sdwa v12, v29, v13 dst_sel:DWORD dst_unused:UNUSED_PAD src0_sel:WORD_1 src1_sel:DWORD
	s_waitcnt lgkmcnt(0)
	v_lshrrev_b32_e32 v14, 16, v9
	v_fma_f16 v12, v29, v5, v12
	v_mul_f16_sdwa v5, v29, v5 dst_sel:DWORD dst_unused:UNUSED_PAD src0_sel:WORD_1 src1_sel:DWORD
	v_fma_f16 v5, v29, v13, -v5
	v_mul_f16_sdwa v13, v30, v14 dst_sel:DWORD dst_unused:UNUSED_PAD src0_sel:WORD_1 src1_sel:DWORD
	v_fma_f16 v13, v30, v9, v13
	v_mul_f16_sdwa v9, v30, v9 dst_sel:DWORD dst_unused:UNUSED_PAD src0_sel:WORD_1 src1_sel:DWORD
	v_fma_f16 v9, v30, v14, -v9
	v_add_f16_e32 v14, v15, v13
	v_add_f16_e32 v16, v1, v9
	v_sub_f16_e32 v13, v15, v13
	v_sub_f16_e32 v1, v1, v9
	v_add_f16_e32 v9, v8, v12
	v_add_f16_e32 v15, v2, v5
	v_sub_f16_e32 v8, v8, v12
	v_sub_f16_e32 v2, v2, v5
	v_add_f16_e32 v5, v10, v11
	v_add_f16_e32 v12, v3, v4
	v_sub_f16_e32 v10, v11, v10
	v_sub_f16_e32 v3, v4, v3
	v_add_f16_e32 v4, v9, v14
	v_add_f16_e32 v11, v15, v16
	v_sub_f16_e32 v17, v9, v14
	v_sub_f16_e32 v18, v15, v16
	v_sub_f16_e32 v14, v14, v5
	v_sub_f16_e32 v16, v16, v12
	;; [unrolled: 1-line block ×4, first 2 shown]
	v_add_f16_e32 v19, v10, v8
	v_add_f16_e32 v23, v3, v2
	v_sub_f16_e32 v24, v10, v8
	v_sub_f16_e32 v25, v3, v2
	v_add_f16_e32 v4, v5, v4
	v_add_f16_e32 v5, v12, v11
	v_sub_f16_e32 v10, v13, v10
	v_sub_f16_e32 v3, v1, v3
	;; [unrolled: 1-line block ×4, first 2 shown]
	v_add_f16_e32 v11, v19, v13
	v_add_f16_e32 v1, v23, v1
	;; [unrolled: 1-line block ×3, first 2 shown]
	v_add_f16_sdwa v0, v0, v5 dst_sel:DWORD dst_unused:UNUSED_PAD src0_sel:WORD_1 src1_sel:DWORD
	v_mul_f16_e32 v13, 0x3a52, v14
	v_mul_f16_e32 v14, 0x3a52, v16
	;; [unrolled: 1-line block ×8, first 2 shown]
	v_fma_f16 v4, v4, s4, v12
	v_fma_f16 v5, v5, s4, v0
	v_fma_f16 v9, v9, s2, v13
	v_fma_f16 v15, v15, s2, v14
	v_fma_f16 v16, v17, s5, -v16
	v_fma_f16 v19, v18, s5, -v19
	;; [unrolled: 1-line block ×4, first 2 shown]
	v_fma_f16 v17, v10, s7, v23
	v_fma_f16 v18, v3, s7, v24
	v_fma_f16 v8, v8, s3, -v23
	v_fma_f16 v2, v2, s3, -v24
	;; [unrolled: 1-line block ×4, first 2 shown]
	v_add_f16_e32 v9, v9, v4
	v_add_f16_e32 v15, v15, v5
	;; [unrolled: 1-line block ×6, first 2 shown]
	v_fma_f16 v13, v11, s15, v17
	v_fma_f16 v14, v1, s15, v18
	;; [unrolled: 1-line block ×6, first 2 shown]
	v_add_f16_e32 v3, v14, v9
	v_sub_f16_e32 v11, v15, v13
	v_add_f16_e32 v17, v1, v4
	v_sub_f16_e32 v18, v5, v10
	v_sub_f16_e32 v23, v16, v2
	v_add_f16_e32 v24, v8, v19
	v_pack_b32_f16 v0, v12, v0
	v_pack_b32_f16 v3, v3, v11
	v_add_f16_e32 v2, v2, v16
	v_sub_f16_e32 v8, v19, v8
	v_sub_f16_e32 v1, v4, v1
	v_add_f16_e32 v4, v10, v5
	ds_write2_b32 v41, v0, v3 offset1:182
	v_pack_b32_f16 v0, v17, v18
	v_pack_b32_f16 v3, v23, v24
	v_sub_f16_e32 v5, v9, v14
	v_add_f16_e32 v9, v13, v15
	ds_write2_b32 v6, v0, v3 offset0:44 offset1:226
	v_pack_b32_f16 v0, v2, v8
	v_pack_b32_f16 v1, v1, v4
	ds_write2_b32 v7, v0, v1 offset0:24 offset1:206
	v_pack_b32_f16 v0, v5, v9
	ds_write_b32 v41, v0 offset:4368
	s_waitcnt lgkmcnt(0)
	s_barrier
	ds_read2_b32 v[0:1], v41 offset1:182
	s_mov_b32 s6, 0xf5262dd1
	s_mov_b32 s7, 0x3f49b876
	v_mad_u64_u32 v[3:4], s[2:3], s10, v22, 0
	s_waitcnt lgkmcnt(0)
	v_lshrrev_b32_e32 v9, 16, v0
	v_mul_f16_sdwa v2, v48, v9 dst_sel:DWORD dst_unused:UNUSED_PAD src0_sel:WORD_1 src1_sel:DWORD
	v_fma_f16 v2, v48, v0, v2
	v_cvt_f32_f16_e32 v2, v2
	s_movk_i32 s14, 0x1ff
	s_movk_i32 s15, 0xffe
	v_mul_f16_sdwa v0, v48, v0 dst_sel:DWORD dst_unused:UNUSED_PAD src0_sel:WORD_1 src1_sel:DWORD
	v_cvt_f64_f32_e32 v[5:6], v2
	v_mov_b32_e32 v2, v4
	v_mad_u64_u32 v[7:8], s[2:3], s11, v22, v[2:3]
	v_mul_f64 v[5:6], v[5:6], s[6:7]
	v_fma_f16 v0, v48, v9, -v0
	v_mov_b32_e32 v4, v7
	v_cvt_f32_f16_e32 v0, v0
	s_mov_b32 s17, 0x8000
	v_lshlrev_b64 v[3:4], 2, v[3:4]
	s_movk_i32 s18, 0x1000
	v_and_or_b32 v2, v6, s14, v5
	v_cmp_ne_u32_e32 vcc, 0, v2
	v_cndmask_b32_e64 v2, 0, 1, vcc
	v_lshrrev_b32_e32 v5, 8, v6
	v_bfe_u32 v7, v6, 20, 11
	v_and_or_b32 v5, v5, s15, v2
	v_sub_u32_e32 v8, 0x3f1, v7
	v_or_b32_e32 v2, 0x1000, v5
	v_med3_i32 v8, v8, 0, 13
	v_lshrrev_b32_e32 v10, v8, v2
	v_lshlrev_b32_e32 v8, v8, v10
	v_cmp_ne_u32_e32 vcc, v8, v2
	v_cndmask_b32_e64 v2, 0, 1, vcc
	v_or_b32_e32 v2, v10, v2
	v_add_u32_e32 v10, 0xfffffc10, v7
	v_lshl_or_b32 v7, v10, 12, v5
	v_cmp_gt_i32_e32 vcc, 1, v10
	v_cndmask_b32_e32 v2, v7, v2, vcc
	v_and_b32_e32 v7, 7, v2
	v_cmp_lt_i32_e32 vcc, 5, v7
	v_cmp_eq_u32_e64 s[2:3], 3, v7
	v_cvt_f64_f32_e32 v[7:8], v0
	v_lshrrev_b32_e32 v2, 2, v2
	s_or_b64 vcc, s[2:3], vcc
	v_addc_co_u32_e32 v9, vcc, 0, v2, vcc
	v_mul_f64 v[7:8], v[7:8], s[6:7]
	v_mov_b32_e32 v2, 0x7c00
	v_cmp_gt_i32_e32 vcc, 31, v10
	v_cndmask_b32_e32 v0, v2, v9, vcc
	v_cmp_ne_u32_e32 vcc, 0, v5
	v_cndmask_b32_e64 v5, 0, 1, vcc
	v_lshl_or_b32 v5, v5, 9, v2
	v_cmp_eq_u32_e32 vcc, s16, v10
	v_cndmask_b32_e32 v0, v0, v5, vcc
	v_lshrrev_b32_e32 v5, 16, v6
	v_and_or_b32 v11, v5, s17, v0
	v_and_or_b32 v0, v8, s14, v7
	v_cmp_ne_u32_e32 vcc, 0, v0
	v_cndmask_b32_e64 v0, 0, 1, vcc
	v_lshrrev_b32_e32 v5, 8, v8
	v_bfe_u32 v6, v8, 20, 11
	v_and_or_b32 v0, v5, s15, v0
	v_sub_u32_e32 v7, 0x3f1, v6
	v_or_b32_e32 v5, 0x1000, v0
	v_med3_i32 v7, v7, 0, 13
	v_lshrrev_b32_e32 v9, v7, v5
	v_lshlrev_b32_e32 v7, v7, v9
	v_cmp_ne_u32_e32 vcc, v7, v5
	v_cndmask_b32_e64 v5, 0, 1, vcc
	v_add_u32_e32 v6, 0xfffffc10, v6
	v_or_b32_e32 v5, v9, v5
	v_lshl_or_b32 v7, v6, 12, v0
	v_cmp_gt_i32_e32 vcc, 1, v6
	v_cndmask_b32_e32 v5, v7, v5, vcc
	v_and_b32_e32 v7, 7, v5
	v_cmp_lt_i32_e32 vcc, 5, v7
	v_cmp_eq_u32_e64 s[2:3], 3, v7
	v_lshrrev_b32_e32 v5, 2, v5
	s_or_b64 vcc, s[2:3], vcc
	v_addc_co_u32_e32 v5, vcc, 0, v5, vcc
	v_cmp_gt_i32_e32 vcc, 31, v6
	v_cndmask_b32_e32 v5, v2, v5, vcc
	v_cmp_ne_u32_e32 vcc, 0, v0
	v_cndmask_b32_e64 v0, 0, 1, vcc
	v_lshl_or_b32 v0, v0, 9, v2
	v_cmp_eq_u32_e32 vcc, s16, v6
	v_cndmask_b32_e32 v12, v5, v0, vcc
	v_add_u32_e32 v0, 0x900, v41
	v_mad_u64_u32 v[5:6], s[2:3], s8, v47, 0
	ds_read2_b32 v[9:10], v0 offset0:61 offset1:243
	v_lshrrev_b32_e32 v8, 16, v8
	v_mov_b32_e32 v0, v6
	v_mad_u64_u32 v[6:7], s[2:3], s9, v47, v[0:1]
	s_waitcnt lgkmcnt(0)
	v_lshrrev_b32_e32 v0, 16, v9
	v_mul_f16_sdwa v7, v46, v0 dst_sel:DWORD dst_unused:UNUSED_PAD src0_sel:WORD_1 src1_sel:DWORD
	v_fma_f16 v7, v46, v9, v7
	v_cvt_f32_f16_e32 v7, v7
	v_and_or_b32 v12, v8, s17, v12
	v_and_b32_e32 v11, 0xffff, v11
	v_lshl_or_b32 v11, v12, 16, v11
	v_cvt_f64_f32_e32 v[7:8], v7
	v_mov_b32_e32 v12, s13
	v_add_co_u32_e32 v13, vcc, s12, v3
	v_mul_f64 v[7:8], v[7:8], s[6:7]
	v_addc_co_u32_e32 v12, vcc, v12, v4, vcc
	v_lshlrev_b64 v[3:4], 2, v[5:6]
	v_mul_f16_sdwa v9, v46, v9 dst_sel:DWORD dst_unused:UNUSED_PAD src0_sel:WORD_1 src1_sel:DWORD
	v_add_co_u32_e32 v3, vcc, v13, v3
	v_addc_co_u32_e32 v4, vcc, v12, v4, vcc
	v_and_or_b32 v5, v8, s14, v7
	v_cmp_ne_u32_e32 vcc, 0, v5
	v_cndmask_b32_e64 v5, 0, 1, vcc
	v_lshrrev_b32_e32 v6, 8, v8
	v_and_or_b32 v7, v6, s15, v5
	v_bfe_u32 v6, v8, 20, 11
	global_store_dword v[3:4], v11, off
	v_sub_u32_e32 v11, 0x3f1, v6
	v_or_b32_e32 v5, 0x1000, v7
	v_med3_i32 v11, v11, 0, 13
	v_lshrrev_b32_e32 v12, v11, v5
	v_lshlrev_b32_e32 v11, v11, v12
	v_cmp_ne_u32_e32 vcc, v11, v5
	v_fma_f16 v0, v46, v0, -v9
	v_cndmask_b32_e64 v5, 0, 1, vcc
	v_add_u32_e32 v11, 0xfffffc10, v6
	v_cvt_f32_f16_e32 v0, v0
	v_or_b32_e32 v5, v12, v5
	v_lshl_or_b32 v6, v11, 12, v7
	v_cmp_gt_i32_e32 vcc, 1, v11
	v_cndmask_b32_e32 v5, v6, v5, vcc
	v_and_b32_e32 v6, 7, v5
	v_cmp_lt_i32_e32 vcc, 5, v6
	v_cmp_eq_u32_e64 s[2:3], 3, v6
	v_lshrrev_b32_e32 v9, 2, v5
	v_cvt_f64_f32_e32 v[5:6], v0
	s_or_b64 vcc, s[2:3], vcc
	v_addc_co_u32_e32 v0, vcc, 0, v9, vcc
	v_mul_f64 v[5:6], v[5:6], s[6:7]
	v_cmp_gt_i32_e32 vcc, 31, v11
	v_cndmask_b32_e32 v0, v2, v0, vcc
	v_cmp_ne_u32_e32 vcc, 0, v7
	v_cndmask_b32_e64 v7, 0, 1, vcc
	v_lshl_or_b32 v7, v7, 9, v2
	v_cmp_eq_u32_e32 vcc, s16, v11
	v_cndmask_b32_e32 v0, v0, v7, vcc
	v_and_or_b32 v5, v6, s14, v5
	v_lshrrev_b32_e32 v7, 16, v8
	v_cmp_ne_u32_e32 vcc, 0, v5
	v_and_or_b32 v0, v7, s17, v0
	v_cndmask_b32_e64 v5, 0, 1, vcc
	v_lshrrev_b32_e32 v7, 8, v6
	v_bfe_u32 v8, v6, 20, 11
	v_and_or_b32 v5, v7, s15, v5
	v_sub_u32_e32 v9, 0x3f1, v8
	v_or_b32_e32 v7, 0x1000, v5
	v_med3_i32 v9, v9, 0, 13
	v_lshrrev_b32_e32 v11, v9, v7
	v_lshlrev_b32_e32 v9, v9, v11
	v_cmp_ne_u32_e32 vcc, v9, v7
	v_cndmask_b32_e64 v7, 0, 1, vcc
	v_add_u32_e32 v8, 0xfffffc10, v8
	v_or_b32_e32 v7, v11, v7
	v_lshl_or_b32 v9, v8, 12, v5
	v_cmp_gt_i32_e32 vcc, 1, v8
	v_cndmask_b32_e32 v7, v9, v7, vcc
	v_and_b32_e32 v9, 7, v7
	v_cmp_lt_i32_e32 vcc, 5, v9
	v_cmp_eq_u32_e64 s[2:3], 3, v9
	v_lshrrev_b32_e32 v7, 2, v7
	s_or_b64 vcc, s[2:3], vcc
	v_addc_co_u32_e32 v7, vcc, 0, v7, vcc
	v_cmp_gt_i32_e32 vcc, 31, v8
	v_cndmask_b32_e32 v7, v2, v7, vcc
	v_cmp_ne_u32_e32 vcc, 0, v5
	v_cndmask_b32_e64 v5, 0, 1, vcc
	v_lshl_or_b32 v5, v5, 9, v2
	v_cmp_eq_u32_e32 vcc, s16, v8
	v_cndmask_b32_e32 v5, v7, v5, vcc
	v_lshrrev_b32_e32 v6, 16, v6
	v_lshrrev_b32_e32 v8, 16, v1
	v_and_or_b32 v7, v6, s17, v5
	v_mul_f16_sdwa v5, v45, v8 dst_sel:DWORD dst_unused:UNUSED_PAD src0_sel:WORD_1 src1_sel:DWORD
	v_fma_f16 v5, v45, v1, v5
	v_cvt_f32_f16_e32 v5, v5
	s_mul_i32 s2, s9, 0x27d
	s_mul_hi_u32 s3, s8, 0x27d
	s_add_i32 s3, s3, s2
	v_cvt_f64_f32_e32 v[5:6], v5
	s_mul_i32 s2, s8, 0x27d
	v_and_b32_e32 v0, 0xffff, v0
	s_lshl_b64 s[10:11], s[2:3], 2
	v_mul_f64 v[5:6], v[5:6], s[6:7]
	v_lshl_or_b32 v0, v7, 16, v0
	v_mov_b32_e32 v7, s11
	v_add_co_u32_e32 v3, vcc, s10, v3
	v_addc_co_u32_e32 v4, vcc, v4, v7, vcc
	global_store_dword v[3:4], v0, off
	v_and_or_b32 v0, v6, s14, v5
	v_cmp_ne_u32_e32 vcc, 0, v0
	v_cndmask_b32_e64 v0, 0, 1, vcc
	v_lshrrev_b32_e32 v5, 8, v6
	v_bfe_u32 v9, v6, 20, 11
	v_and_or_b32 v5, v5, s15, v0
	v_sub_u32_e32 v11, 0x3f1, v9
	v_or_b32_e32 v0, 0x1000, v5
	v_med3_i32 v11, v11, 0, 13
	v_lshrrev_b32_e32 v12, v11, v0
	v_mul_f16_sdwa v1, v45, v1 dst_sel:DWORD dst_unused:UNUSED_PAD src0_sel:WORD_1 src1_sel:DWORD
	v_lshlrev_b32_e32 v11, v11, v12
	v_fma_f16 v1, v45, v8, -v1
	v_cmp_ne_u32_e32 vcc, v11, v0
	v_cvt_f32_f16_e32 v1, v1
	v_cndmask_b32_e64 v0, 0, 1, vcc
	v_add_u32_e32 v9, 0xfffffc10, v9
	v_or_b32_e32 v0, v12, v0
	v_lshl_or_b32 v11, v9, 12, v5
	v_cmp_gt_i32_e32 vcc, 1, v9
	v_cndmask_b32_e32 v0, v11, v0, vcc
	v_and_b32_e32 v11, 7, v0
	v_lshrrev_b32_e32 v8, 2, v0
	v_cvt_f64_f32_e32 v[0:1], v1
	v_cmp_lt_i32_e32 vcc, 5, v11
	v_cmp_eq_u32_e64 s[2:3], 3, v11
	s_or_b64 vcc, s[2:3], vcc
	v_mul_f64 v[0:1], v[0:1], s[6:7]
	v_addc_co_u32_e32 v8, vcc, 0, v8, vcc
	v_cmp_gt_i32_e32 vcc, 31, v9
	v_cndmask_b32_e32 v8, v2, v8, vcc
	v_cmp_ne_u32_e32 vcc, 0, v5
	v_cndmask_b32_e64 v5, 0, 1, vcc
	v_lshl_or_b32 v5, v5, 9, v2
	v_cmp_eq_u32_e32 vcc, s16, v9
	v_and_or_b32 v0, v1, s14, v0
	v_cndmask_b32_e32 v5, v8, v5, vcc
	v_lshrrev_b32_e32 v6, 16, v6
	v_cmp_ne_u32_e32 vcc, 0, v0
	v_and_or_b32 v5, v6, s17, v5
	v_cndmask_b32_e64 v0, 0, 1, vcc
	v_lshrrev_b32_e32 v6, 8, v1
	v_bfe_u32 v8, v1, 20, 11
	v_and_or_b32 v0, v6, s15, v0
	v_sub_u32_e32 v9, 0x3f1, v8
	v_or_b32_e32 v6, 0x1000, v0
	v_med3_i32 v9, v9, 0, 13
	v_lshrrev_b32_e32 v11, v9, v6
	v_lshlrev_b32_e32 v9, v9, v11
	v_cmp_ne_u32_e32 vcc, v9, v6
	v_cndmask_b32_e64 v6, 0, 1, vcc
	v_add_u32_e32 v8, 0xfffffc10, v8
	v_or_b32_e32 v6, v11, v6
	v_lshl_or_b32 v9, v8, 12, v0
	v_cmp_gt_i32_e32 vcc, 1, v8
	v_cndmask_b32_e32 v6, v9, v6, vcc
	v_and_b32_e32 v9, 7, v6
	v_cmp_lt_i32_e32 vcc, 5, v9
	v_cmp_eq_u32_e64 s[2:3], 3, v9
	v_lshrrev_b32_e32 v6, 2, v6
	s_or_b64 vcc, s[2:3], vcc
	v_addc_co_u32_e32 v6, vcc, 0, v6, vcc
	v_cmp_gt_i32_e32 vcc, 31, v8
	v_cndmask_b32_e32 v6, v2, v6, vcc
	v_cmp_ne_u32_e32 vcc, 0, v0
	v_cndmask_b32_e64 v0, 0, 1, vcc
	v_lshl_or_b32 v0, v0, 9, v2
	v_cmp_eq_u32_e32 vcc, s16, v8
	v_cndmask_b32_e32 v0, v6, v0, vcc
	v_lshrrev_b32_e32 v1, 16, v1
	v_lshrrev_b32_e32 v8, 16, v10
	v_and_or_b32 v6, v1, s17, v0
	v_mul_f16_sdwa v0, v44, v8 dst_sel:DWORD dst_unused:UNUSED_PAD src0_sel:WORD_1 src1_sel:DWORD
	v_fma_f16 v0, v44, v10, v0
	v_cvt_f32_f16_e32 v0, v0
	s_mul_hi_u32 s3, s8, 0xfffffe39
	s_mul_i32 s2, s9, 0xfffffe39
	s_sub_i32 s3, s3, s8
	v_cvt_f64_f32_e32 v[0:1], v0
	s_add_i32 s3, s3, s2
	s_mul_i32 s2, s8, 0xfffffe39
	s_lshl_b64 s[4:5], s[2:3], 2
	v_mul_f64 v[0:1], v[0:1], s[6:7]
	v_mov_b32_e32 v9, s5
	v_add_co_u32_e32 v3, vcc, s4, v3
	v_and_b32_e32 v5, 0xffff, v5
	v_addc_co_u32_e32 v4, vcc, v4, v9, vcc
	v_lshl_or_b32 v5, v6, 16, v5
	v_and_or_b32 v0, v1, s14, v0
	v_cmp_ne_u32_e32 vcc, 0, v0
	global_store_dword v[3:4], v5, off
	v_cndmask_b32_e64 v0, 0, 1, vcc
	v_lshrrev_b32_e32 v5, 8, v1
	v_bfe_u32 v6, v1, 20, 11
	v_and_or_b32 v0, v5, s15, v0
	v_sub_u32_e32 v11, 0x3f1, v6
	v_or_b32_e32 v5, 0x1000, v0
	v_med3_i32 v11, v11, 0, 13
	v_lshrrev_b32_e32 v12, v11, v5
	v_lshlrev_b32_e32 v11, v11, v12
	v_mul_f16_sdwa v10, v44, v10 dst_sel:DWORD dst_unused:UNUSED_PAD src0_sel:WORD_1 src1_sel:DWORD
	v_cmp_ne_u32_e32 vcc, v11, v5
	v_fma_f16 v8, v44, v8, -v10
	v_cndmask_b32_e64 v5, 0, 1, vcc
	v_add_u32_e32 v11, 0xfffffc10, v6
	v_cvt_f32_f16_e32 v8, v8
	v_or_b32_e32 v5, v12, v5
	v_lshl_or_b32 v6, v11, 12, v0
	v_cmp_gt_i32_e32 vcc, 1, v11
	v_cndmask_b32_e32 v5, v6, v5, vcc
	v_and_b32_e32 v6, 7, v5
	v_cmp_lt_i32_e32 vcc, 5, v6
	v_cmp_eq_u32_e64 s[2:3], 3, v6
	v_lshrrev_b32_e32 v10, 2, v5
	v_cvt_f64_f32_e32 v[5:6], v8
	s_or_b64 vcc, s[2:3], vcc
	v_addc_co_u32_e32 v8, vcc, 0, v10, vcc
	v_mul_f64 v[5:6], v[5:6], s[6:7]
	v_cmp_gt_i32_e32 vcc, 31, v11
	v_cndmask_b32_e32 v8, v2, v8, vcc
	v_cmp_ne_u32_e32 vcc, 0, v0
	v_cndmask_b32_e64 v0, 0, 1, vcc
	v_lshl_or_b32 v0, v0, 9, v2
	v_cmp_eq_u32_e32 vcc, s16, v11
	v_cndmask_b32_e32 v0, v8, v0, vcc
	v_lshrrev_b32_e32 v1, 16, v1
	v_and_or_b32 v8, v1, s17, v0
	v_and_or_b32 v0, v6, s14, v5
	v_cmp_ne_u32_e32 vcc, 0, v0
	v_cndmask_b32_e64 v0, 0, 1, vcc
	v_lshrrev_b32_e32 v1, 8, v6
	v_bfe_u32 v5, v6, 20, 11
	v_and_or_b32 v0, v1, s15, v0
	v_sub_u32_e32 v10, 0x3f1, v5
	v_or_b32_e32 v1, 0x1000, v0
	v_med3_i32 v10, v10, 0, 13
	v_lshrrev_b32_e32 v11, v10, v1
	v_lshlrev_b32_e32 v10, v10, v11
	v_cmp_ne_u32_e32 vcc, v10, v1
	v_cndmask_b32_e64 v1, 0, 1, vcc
	v_add_u32_e32 v5, 0xfffffc10, v5
	v_or_b32_e32 v1, v11, v1
	v_lshl_or_b32 v10, v5, 12, v0
	v_cmp_gt_i32_e32 vcc, 1, v5
	v_cndmask_b32_e32 v1, v10, v1, vcc
	v_and_b32_e32 v10, 7, v1
	v_cmp_lt_i32_e32 vcc, 5, v10
	v_cmp_eq_u32_e64 s[2:3], 3, v10
	ds_read_b32 v10, v41 offset:1456
	ds_read_b32 v12, v41 offset:4004
	v_lshrrev_b32_e32 v1, 2, v1
	s_or_b64 vcc, s[2:3], vcc
	v_addc_co_u32_e32 v1, vcc, 0, v1, vcc
	v_cmp_gt_i32_e32 vcc, 31, v5
	s_waitcnt lgkmcnt(1)
	v_lshrrev_b32_e32 v13, 16, v10
	v_cndmask_b32_e32 v11, v2, v1, vcc
	v_mul_f16_sdwa v1, v43, v13 dst_sel:DWORD dst_unused:UNUSED_PAD src0_sel:WORD_1 src1_sel:DWORD
	v_fma_f16 v1, v43, v10, v1
	v_cvt_f32_f16_e32 v1, v1
	v_cmp_ne_u32_e32 vcc, 0, v0
	v_cndmask_b32_e64 v0, 0, 1, vcc
	v_lshl_or_b32 v14, v0, 9, v2
	v_cvt_f64_f32_e32 v[0:1], v1
	v_cmp_eq_u32_e32 vcc, s16, v5
	v_cndmask_b32_e32 v5, v11, v14, vcc
	v_lshrrev_b32_e32 v6, 16, v6
	v_mul_f64 v[0:1], v[0:1], s[6:7]
	v_add_co_u32_e32 v3, vcc, s10, v3
	v_and_or_b32 v5, v6, s17, v5
	v_and_b32_e32 v6, 0xffff, v8
	v_addc_co_u32_e32 v4, vcc, v4, v7, vcc
	v_lshl_or_b32 v5, v5, 16, v6
	v_and_or_b32 v0, v1, s14, v0
	v_cmp_ne_u32_e32 vcc, 0, v0
	global_store_dword v[3:4], v5, off
	v_cndmask_b32_e64 v0, 0, 1, vcc
	v_lshrrev_b32_e32 v5, 8, v1
	v_bfe_u32 v6, v1, 20, 11
	v_and_or_b32 v0, v5, s15, v0
	v_sub_u32_e32 v8, 0x3f1, v6
	v_or_b32_e32 v5, 0x1000, v0
	v_med3_i32 v8, v8, 0, 13
	v_lshrrev_b32_e32 v11, v8, v5
	v_lshlrev_b32_e32 v8, v8, v11
	v_mul_f16_sdwa v10, v43, v10 dst_sel:DWORD dst_unused:UNUSED_PAD src0_sel:WORD_1 src1_sel:DWORD
	v_cmp_ne_u32_e32 vcc, v8, v5
	v_fma_f16 v10, v43, v13, -v10
	v_cndmask_b32_e64 v5, 0, 1, vcc
	v_add_u32_e32 v8, 0xfffffc10, v6
	v_cvt_f32_f16_e32 v10, v10
	v_or_b32_e32 v5, v11, v5
	v_lshl_or_b32 v6, v8, 12, v0
	v_cmp_gt_i32_e32 vcc, 1, v8
	v_cndmask_b32_e32 v5, v6, v5, vcc
	v_and_b32_e32 v6, 7, v5
	v_cmp_lt_i32_e32 vcc, 5, v6
	v_cmp_eq_u32_e64 s[2:3], 3, v6
	v_lshrrev_b32_e32 v11, 2, v5
	v_cvt_f64_f32_e32 v[5:6], v10
	s_or_b64 vcc, s[2:3], vcc
	v_addc_co_u32_e32 v10, vcc, 0, v11, vcc
	v_mul_f64 v[5:6], v[5:6], s[6:7]
	v_cmp_gt_i32_e32 vcc, 31, v8
	v_cndmask_b32_e32 v10, v2, v10, vcc
	v_cmp_ne_u32_e32 vcc, 0, v0
	v_cndmask_b32_e64 v0, 0, 1, vcc
	v_lshl_or_b32 v0, v0, 9, v2
	v_cmp_eq_u32_e32 vcc, s16, v8
	v_cndmask_b32_e32 v0, v10, v0, vcc
	v_lshrrev_b32_e32 v1, 16, v1
	v_and_or_b32 v8, v1, s17, v0
	v_and_or_b32 v0, v6, s14, v5
	v_cmp_ne_u32_e32 vcc, 0, v0
	v_cndmask_b32_e64 v0, 0, 1, vcc
	v_lshrrev_b32_e32 v1, 8, v6
	v_bfe_u32 v5, v6, 20, 11
	v_and_or_b32 v0, v1, s15, v0
	v_sub_u32_e32 v10, 0x3f1, v5
	v_or_b32_e32 v1, 0x1000, v0
	v_med3_i32 v10, v10, 0, 13
	v_lshrrev_b32_e32 v11, v10, v1
	v_lshlrev_b32_e32 v10, v10, v11
	v_cmp_ne_u32_e32 vcc, v10, v1
	v_cndmask_b32_e64 v1, 0, 1, vcc
	v_add_u32_e32 v5, 0xfffffc10, v5
	v_or_b32_e32 v1, v11, v1
	v_lshl_or_b32 v10, v5, 12, v0
	v_cmp_gt_i32_e32 vcc, 1, v5
	v_cndmask_b32_e32 v1, v10, v1, vcc
	v_and_b32_e32 v10, 7, v1
	v_cmp_lt_i32_e32 vcc, 5, v10
	v_cmp_eq_u32_e64 s[2:3], 3, v10
	v_lshrrev_b32_e32 v1, 2, v1
	s_or_b64 vcc, s[2:3], vcc
	v_addc_co_u32_e32 v1, vcc, 0, v1, vcc
	v_cmp_gt_i32_e32 vcc, 31, v5
	s_waitcnt lgkmcnt(0)
	v_lshrrev_b32_e32 v11, 16, v12
	v_cndmask_b32_e32 v10, v2, v1, vcc
	v_mul_f16_sdwa v1, v42, v11 dst_sel:DWORD dst_unused:UNUSED_PAD src0_sel:WORD_1 src1_sel:DWORD
	v_fma_f16 v1, v42, v12, v1
	v_cvt_f32_f16_e32 v1, v1
	v_cmp_ne_u32_e32 vcc, 0, v0
	v_cndmask_b32_e64 v0, 0, 1, vcc
	v_lshl_or_b32 v13, v0, 9, v2
	v_cvt_f64_f32_e32 v[0:1], v1
	v_cmp_eq_u32_e32 vcc, s16, v5
	v_cndmask_b32_e32 v5, v10, v13, vcc
	v_lshrrev_b32_e32 v6, 16, v6
	v_mul_f64 v[0:1], v[0:1], s[6:7]
	v_add_co_u32_e32 v3, vcc, s4, v3
	v_and_or_b32 v5, v6, s17, v5
	v_and_b32_e32 v6, 0xffff, v8
	v_addc_co_u32_e32 v4, vcc, v4, v9, vcc
	v_lshl_or_b32 v5, v5, 16, v6
	v_and_or_b32 v0, v1, s14, v0
	v_cmp_ne_u32_e32 vcc, 0, v0
	global_store_dword v[3:4], v5, off
	v_cndmask_b32_e64 v0, 0, 1, vcc
	v_lshrrev_b32_e32 v5, 8, v1
	v_bfe_u32 v6, v1, 20, 11
	v_and_or_b32 v0, v5, s15, v0
	v_sub_u32_e32 v8, 0x3f1, v6
	v_or_b32_e32 v5, 0x1000, v0
	v_med3_i32 v8, v8, 0, 13
	v_lshrrev_b32_e32 v9, v8, v5
	v_lshlrev_b32_e32 v8, v8, v9
	v_cmp_ne_u32_e32 vcc, v8, v5
	v_cndmask_b32_e64 v5, 0, 1, vcc
	v_or_b32_e32 v5, v9, v5
	v_mul_f16_sdwa v9, v42, v12 dst_sel:DWORD dst_unused:UNUSED_PAD src0_sel:WORD_1 src1_sel:DWORD
	v_fma_f16 v9, v42, v11, -v9
	v_add_u32_e32 v8, 0xfffffc10, v6
	v_cvt_f32_f16_e32 v9, v9
	v_lshl_or_b32 v6, v8, 12, v0
	v_cmp_gt_i32_e32 vcc, 1, v8
	v_cndmask_b32_e32 v5, v6, v5, vcc
	v_and_b32_e32 v6, 7, v5
	v_cmp_lt_i32_e32 vcc, 5, v6
	v_cmp_eq_u32_e64 s[2:3], 3, v6
	v_lshrrev_b32_e32 v10, 2, v5
	v_cvt_f64_f32_e32 v[5:6], v9
	s_or_b64 vcc, s[2:3], vcc
	v_addc_co_u32_e32 v9, vcc, 0, v10, vcc
	v_mul_f64 v[5:6], v[5:6], s[6:7]
	v_cmp_gt_i32_e32 vcc, 31, v8
	v_cndmask_b32_e32 v9, v2, v9, vcc
	v_cmp_ne_u32_e32 vcc, 0, v0
	v_cndmask_b32_e64 v0, 0, 1, vcc
	v_lshl_or_b32 v0, v0, 9, v2
	v_cmp_eq_u32_e32 vcc, s16, v8
	v_cndmask_b32_e32 v0, v9, v0, vcc
	v_lshrrev_b32_e32 v1, 16, v1
	v_and_or_b32 v0, v1, s17, v0
	v_and_or_b32 v1, v6, s14, v5
	v_cmp_ne_u32_e32 vcc, 0, v1
	v_cndmask_b32_e64 v1, 0, 1, vcc
	v_lshrrev_b32_e32 v5, 8, v6
	v_bfe_u32 v8, v6, 20, 11
	v_and_or_b32 v1, v5, s15, v1
	v_sub_u32_e32 v9, 0x3f1, v8
	v_or_b32_e32 v5, 0x1000, v1
	v_med3_i32 v9, v9, 0, 13
	v_lshrrev_b32_e32 v10, v9, v5
	v_lshlrev_b32_e32 v9, v9, v10
	v_cmp_ne_u32_e32 vcc, v9, v5
	v_cndmask_b32_e64 v5, 0, 1, vcc
	v_add_u32_e32 v8, 0xfffffc10, v8
	v_or_b32_e32 v5, v10, v5
	v_lshl_or_b32 v9, v8, 12, v1
	v_cmp_gt_i32_e32 vcc, 1, v8
	v_cndmask_b32_e32 v5, v9, v5, vcc
	v_and_b32_e32 v9, 7, v5
	v_cmp_lt_i32_e32 vcc, 5, v9
	v_cmp_eq_u32_e64 s[2:3], 3, v9
	v_lshrrev_b32_e32 v5, 2, v5
	s_or_b64 vcc, s[2:3], vcc
	v_addc_co_u32_e32 v5, vcc, 0, v5, vcc
	v_cmp_gt_i32_e32 vcc, 31, v8
	v_cndmask_b32_e32 v5, v2, v5, vcc
	v_cmp_ne_u32_e32 vcc, 0, v1
	v_cndmask_b32_e64 v1, 0, 1, vcc
	v_lshl_or_b32 v1, v1, 9, v2
	v_cmp_eq_u32_e32 vcc, s16, v8
	v_cndmask_b32_e32 v1, v5, v1, vcc
	v_lshrrev_b32_e32 v5, 16, v6
	v_and_or_b32 v1, v5, s17, v1
	v_and_b32_e32 v0, 0xffff, v0
	v_lshl_or_b32 v5, v1, 16, v0
	v_add_co_u32_e32 v0, vcc, s10, v3
	v_addc_co_u32_e32 v1, vcc, v4, v7, vcc
	global_store_dword v[0:1], v5, off
	s_and_b64 exec, exec, s[0:1]
	s_cbranch_execz .LBB0_23
; %bb.22:
	global_load_dword v5, v[20:21], off offset:2184
	v_add_co_u32_e32 v3, vcc, s18, v20
	v_addc_co_u32_e32 v4, vcc, 0, v21, vcc
	global_load_dword v9, v[3:4], off offset:636
	ds_read_b32 v3, v41 offset:2184
	ds_read_b32 v10, v41 offset:4732
	v_mov_b32_e32 v12, s5
	v_add_co_u32_e32 v0, vcc, s4, v0
	s_waitcnt lgkmcnt(1)
	v_lshrrev_b32_e32 v4, 16, v3
	s_waitcnt lgkmcnt(0)
	v_lshrrev_b32_e32 v11, 16, v10
	v_addc_co_u32_e32 v1, vcc, v1, v12, vcc
	s_waitcnt vmcnt(1)
	v_mul_f16_sdwa v6, v4, v5 dst_sel:DWORD dst_unused:UNUSED_PAD src0_sel:DWORD src1_sel:WORD_1
	v_mul_f16_sdwa v7, v3, v5 dst_sel:DWORD dst_unused:UNUSED_PAD src0_sel:DWORD src1_sel:WORD_1
	v_fma_f16 v3, v3, v5, v6
	v_fma_f16 v4, v5, v4, -v7
	v_cvt_f32_f16_e32 v3, v3
	s_waitcnt vmcnt(0)
	v_mul_f16_sdwa v5, v11, v9 dst_sel:DWORD dst_unused:UNUSED_PAD src0_sel:DWORD src1_sel:WORD_1
	v_cvt_f32_f16_e32 v6, v4
	v_fma_f16 v5, v10, v9, v5
	v_cvt_f32_f16_e32 v7, v5
	v_cvt_f64_f32_e32 v[3:4], v3
	v_cvt_f64_f32_e32 v[5:6], v6
	;; [unrolled: 1-line block ×3, first 2 shown]
	v_mul_f64 v[3:4], v[3:4], s[6:7]
	v_mul_f64 v[5:6], v[5:6], s[6:7]
	;; [unrolled: 1-line block ×3, first 2 shown]
	v_and_or_b32 v3, v4, s14, v3
	v_and_or_b32 v5, v6, s14, v5
	v_cmp_ne_u32_e32 vcc, 0, v3
	v_lshrrev_b32_e32 v12, 8, v4
	v_bfe_u32 v13, v4, 20, 11
	v_bfe_u32 v15, v6, 20, 11
	v_cndmask_b32_e64 v3, 0, 1, vcc
	v_cmp_ne_u32_e32 vcc, 0, v5
	v_and_or_b32 v7, v8, s14, v7
	v_lshrrev_b32_e32 v14, 8, v6
	v_sub_u32_e32 v16, 0x3f1, v13
	v_cndmask_b32_e64 v5, 0, 1, vcc
	v_sub_u32_e32 v17, 0x3f1, v15
	v_bfe_u32 v19, v8, 20, 11
	v_and_or_b32 v3, v12, s15, v3
	v_cmp_ne_u32_e32 vcc, 0, v7
	v_lshrrev_b32_e32 v18, 8, v8
	v_med3_i32 v12, v16, 0, 13
	v_and_or_b32 v5, v14, s15, v5
	v_med3_i32 v14, v17, 0, 13
	v_cndmask_b32_e64 v7, 0, 1, vcc
	v_sub_u32_e32 v16, 0x3f1, v19
	v_add_u32_e32 v17, 0xfffffc10, v19
	v_or_b32_e32 v19, 0x1000, v3
	v_add_u32_e32 v13, 0xfffffc10, v13
	v_cmp_ne_u32_e32 vcc, 0, v3
	v_or_b32_e32 v21, 0x1000, v5
	v_and_or_b32 v7, v18, s15, v7
	v_lshrrev_b32_e32 v18, v12, v19
	v_add_u32_e32 v15, 0xfffffc10, v15
	v_lshl_or_b32 v20, v13, 12, v3
	v_cndmask_b32_e64 v3, 0, 1, vcc
	v_cmp_ne_u32_e32 vcc, 0, v5
	v_med3_i32 v16, v16, 0, 13
	v_lshrrev_b32_e32 v23, v14, v21
	v_or_b32_e32 v24, 0x1000, v7
	v_lshlrev_b32_e32 v12, v12, v18
	v_lshl_or_b32 v22, v15, 12, v5
	v_cndmask_b32_e64 v5, 0, 1, vcc
	v_lshlrev_b32_e32 v14, v14, v23
	v_lshrrev_b32_e32 v25, v16, v24
	v_cmp_ne_u32_e32 vcc, v12, v19
	v_cndmask_b32_e64 v12, 0, 1, vcc
	v_cmp_ne_u32_e32 vcc, v14, v21
	v_lshlrev_b32_e32 v16, v16, v25
	v_cndmask_b32_e64 v14, 0, 1, vcc
	v_cmp_ne_u32_e32 vcc, v16, v24
	v_or_b32_e32 v12, v18, v12
	v_cndmask_b32_e64 v16, 0, 1, vcc
	v_cmp_gt_i32_e32 vcc, 1, v13
	v_cndmask_b32_e32 v12, v20, v12, vcc
	v_or_b32_e32 v14, v23, v14
	v_cmp_gt_i32_e32 vcc, 1, v15
	v_and_b32_e32 v18, 7, v12
	v_cndmask_b32_e32 v14, v22, v14, vcc
	v_cmp_lt_i32_e32 vcc, 5, v18
	v_cmp_eq_u32_e64 s[0:1], 3, v18
	v_lshrrev_b32_e32 v12, 2, v12
	v_and_b32_e32 v19, 7, v14
	s_or_b64 vcc, s[0:1], vcc
	v_cmp_lt_i32_e64 s[2:3], 5, v19
	v_cmp_eq_u32_e64 s[4:5], 3, v19
	v_addc_co_u32_e32 v12, vcc, 0, v12, vcc
	v_lshrrev_b32_e32 v14, 2, v14
	s_or_b64 vcc, s[4:5], s[2:3]
	v_addc_co_u32_e32 v14, vcc, 0, v14, vcc
	v_cmp_gt_i32_e32 vcc, 31, v13
	v_cndmask_b32_e32 v12, v2, v12, vcc
	v_cmp_gt_i32_e32 vcc, 31, v15
	v_lshl_or_b32 v3, v3, 9, v2
	v_cndmask_b32_e32 v14, v2, v14, vcc
	v_cmp_eq_u32_e32 vcc, s16, v13
	v_lshl_or_b32 v5, v5, 9, v2
	v_cndmask_b32_e32 v3, v12, v3, vcc
	v_cmp_eq_u32_e32 vcc, s16, v15
	v_lshrrev_b32_e32 v4, 16, v4
	v_lshrrev_b32_e32 v6, 16, v6
	v_cndmask_b32_e32 v5, v14, v5, vcc
	v_and_or_b32 v3, v4, s17, v3
	v_and_or_b32 v4, v6, s17, v5
	v_mul_f16_sdwa v5, v10, v9 dst_sel:DWORD dst_unused:UNUSED_PAD src0_sel:DWORD src1_sel:WORD_1
	v_and_b32_e32 v3, 0xffff, v3
	v_fma_f16 v5, v9, v11, -v5
	v_lshl_or_b32 v3, v4, 16, v3
	v_cvt_f32_f16_e32 v5, v5
	v_or_b32_e32 v16, v25, v16
	global_store_dword v[0:1], v3, off
	v_lshl_or_b32 v3, v17, 12, v7
	v_cmp_gt_i32_e32 vcc, 1, v17
	v_cndmask_b32_e32 v3, v3, v16, vcc
	v_and_b32_e32 v4, 7, v3
	v_cmp_lt_i32_e32 vcc, 5, v4
	v_cmp_eq_u32_e64 s[0:1], 3, v4
	v_lshrrev_b32_e32 v6, 2, v3
	v_cvt_f64_f32_e32 v[3:4], v5
	s_or_b64 vcc, s[0:1], vcc
	v_addc_co_u32_e32 v5, vcc, 0, v6, vcc
	v_mul_f64 v[3:4], v[3:4], s[6:7]
	v_cmp_gt_i32_e32 vcc, 31, v17
	v_cndmask_b32_e32 v5, v2, v5, vcc
	v_cmp_ne_u32_e32 vcc, 0, v7
	v_cndmask_b32_e64 v6, 0, 1, vcc
	v_lshl_or_b32 v6, v6, 9, v2
	v_cmp_eq_u32_e32 vcc, s16, v17
	v_cndmask_b32_e32 v5, v5, v6, vcc
	v_and_or_b32 v3, v4, s14, v3
	v_lshrrev_b32_e32 v6, 16, v8
	v_cmp_ne_u32_e32 vcc, 0, v3
	v_and_or_b32 v5, v6, s17, v5
	v_cndmask_b32_e64 v3, 0, 1, vcc
	v_lshrrev_b32_e32 v6, 8, v4
	v_bfe_u32 v7, v4, 20, 11
	v_and_or_b32 v3, v6, s15, v3
	v_sub_u32_e32 v8, 0x3f1, v7
	v_or_b32_e32 v6, 0x1000, v3
	v_med3_i32 v8, v8, 0, 13
	v_lshrrev_b32_e32 v9, v8, v6
	v_lshlrev_b32_e32 v8, v8, v9
	v_cmp_ne_u32_e32 vcc, v8, v6
	v_cndmask_b32_e64 v6, 0, 1, vcc
	v_add_u32_e32 v7, 0xfffffc10, v7
	v_or_b32_e32 v6, v9, v6
	v_lshl_or_b32 v8, v7, 12, v3
	v_cmp_gt_i32_e32 vcc, 1, v7
	v_cndmask_b32_e32 v6, v8, v6, vcc
	v_and_b32_e32 v8, 7, v6
	v_cmp_lt_i32_e32 vcc, 5, v8
	v_cmp_eq_u32_e64 s[0:1], 3, v8
	v_lshrrev_b32_e32 v6, 2, v6
	s_or_b64 vcc, s[0:1], vcc
	v_addc_co_u32_e32 v6, vcc, 0, v6, vcc
	v_cmp_gt_i32_e32 vcc, 31, v7
	v_cndmask_b32_e32 v6, v2, v6, vcc
	v_cmp_ne_u32_e32 vcc, 0, v3
	v_cndmask_b32_e64 v3, 0, 1, vcc
	v_lshl_or_b32 v2, v3, 9, v2
	v_cmp_eq_u32_e32 vcc, s16, v7
	v_cndmask_b32_e32 v2, v6, v2, vcc
	v_lshrrev_b32_e32 v3, 16, v4
	v_and_or_b32 v2, v3, s17, v2
	v_and_b32_e32 v3, 0xffff, v5
	v_lshl_or_b32 v2, v2, 16, v3
	v_mov_b32_e32 v3, s11
	v_add_co_u32_e32 v0, vcc, s10, v0
	v_addc_co_u32_e32 v1, vcc, v1, v3, vcc
	global_store_dword v[0:1], v2, off
.LBB0_23:
	s_endpgm
	.section	.rodata,"a",@progbits
	.p2align	6, 0x0
	.amdhsa_kernel bluestein_single_back_len1274_dim1_half_op_CI_CI
		.amdhsa_group_segment_fixed_size 5096
		.amdhsa_private_segment_fixed_size 0
		.amdhsa_kernarg_size 104
		.amdhsa_user_sgpr_count 6
		.amdhsa_user_sgpr_private_segment_buffer 1
		.amdhsa_user_sgpr_dispatch_ptr 0
		.amdhsa_user_sgpr_queue_ptr 0
		.amdhsa_user_sgpr_kernarg_segment_ptr 1
		.amdhsa_user_sgpr_dispatch_id 0
		.amdhsa_user_sgpr_flat_scratch_init 0
		.amdhsa_user_sgpr_private_segment_size 0
		.amdhsa_uses_dynamic_stack 0
		.amdhsa_system_sgpr_private_segment_wavefront_offset 0
		.amdhsa_system_sgpr_workgroup_id_x 1
		.amdhsa_system_sgpr_workgroup_id_y 0
		.amdhsa_system_sgpr_workgroup_id_z 0
		.amdhsa_system_sgpr_workgroup_info 0
		.amdhsa_system_vgpr_workitem_id 0
		.amdhsa_next_free_vgpr 210
		.amdhsa_next_free_sgpr 28
		.amdhsa_reserve_vcc 1
		.amdhsa_reserve_flat_scratch 0
		.amdhsa_float_round_mode_32 0
		.amdhsa_float_round_mode_16_64 0
		.amdhsa_float_denorm_mode_32 3
		.amdhsa_float_denorm_mode_16_64 3
		.amdhsa_dx10_clamp 1
		.amdhsa_ieee_mode 1
		.amdhsa_fp16_overflow 0
		.amdhsa_exception_fp_ieee_invalid_op 0
		.amdhsa_exception_fp_denorm_src 0
		.amdhsa_exception_fp_ieee_div_zero 0
		.amdhsa_exception_fp_ieee_overflow 0
		.amdhsa_exception_fp_ieee_underflow 0
		.amdhsa_exception_fp_ieee_inexact 0
		.amdhsa_exception_int_div_zero 0
	.end_amdhsa_kernel
	.text
.Lfunc_end0:
	.size	bluestein_single_back_len1274_dim1_half_op_CI_CI, .Lfunc_end0-bluestein_single_back_len1274_dim1_half_op_CI_CI
                                        ; -- End function
	.section	.AMDGPU.csdata,"",@progbits
; Kernel info:
; codeLenInByte = 16712
; NumSgprs: 32
; NumVgprs: 210
; ScratchSize: 0
; MemoryBound: 0
; FloatMode: 240
; IeeeMode: 1
; LDSByteSize: 5096 bytes/workgroup (compile time only)
; SGPRBlocks: 3
; VGPRBlocks: 52
; NumSGPRsForWavesPerEU: 32
; NumVGPRsForWavesPerEU: 210
; Occupancy: 1
; WaveLimiterHint : 1
; COMPUTE_PGM_RSRC2:SCRATCH_EN: 0
; COMPUTE_PGM_RSRC2:USER_SGPR: 6
; COMPUTE_PGM_RSRC2:TRAP_HANDLER: 0
; COMPUTE_PGM_RSRC2:TGID_X_EN: 1
; COMPUTE_PGM_RSRC2:TGID_Y_EN: 0
; COMPUTE_PGM_RSRC2:TGID_Z_EN: 0
; COMPUTE_PGM_RSRC2:TIDIG_COMP_CNT: 0
	.type	__hip_cuid_9b4f3426e04f406b,@object ; @__hip_cuid_9b4f3426e04f406b
	.section	.bss,"aw",@nobits
	.globl	__hip_cuid_9b4f3426e04f406b
__hip_cuid_9b4f3426e04f406b:
	.byte	0                               ; 0x0
	.size	__hip_cuid_9b4f3426e04f406b, 1

	.ident	"AMD clang version 19.0.0git (https://github.com/RadeonOpenCompute/llvm-project roc-6.4.0 25133 c7fe45cf4b819c5991fe208aaa96edf142730f1d)"
	.section	".note.GNU-stack","",@progbits
	.addrsig
	.addrsig_sym __hip_cuid_9b4f3426e04f406b
	.amdgpu_metadata
---
amdhsa.kernels:
  - .args:
      - .actual_access:  read_only
        .address_space:  global
        .offset:         0
        .size:           8
        .value_kind:     global_buffer
      - .actual_access:  read_only
        .address_space:  global
        .offset:         8
        .size:           8
        .value_kind:     global_buffer
      - .actual_access:  read_only
        .address_space:  global
        .offset:         16
        .size:           8
        .value_kind:     global_buffer
      - .actual_access:  read_only
        .address_space:  global
        .offset:         24
        .size:           8
        .value_kind:     global_buffer
      - .actual_access:  read_only
        .address_space:  global
        .offset:         32
        .size:           8
        .value_kind:     global_buffer
      - .offset:         40
        .size:           8
        .value_kind:     by_value
      - .address_space:  global
        .offset:         48
        .size:           8
        .value_kind:     global_buffer
      - .address_space:  global
        .offset:         56
        .size:           8
        .value_kind:     global_buffer
      - .address_space:  global
        .offset:         64
        .size:           8
        .value_kind:     global_buffer
      - .address_space:  global
        .offset:         72
        .size:           8
        .value_kind:     global_buffer
      - .offset:         80
        .size:           4
        .value_kind:     by_value
      - .address_space:  global
        .offset:         88
        .size:           8
        .value_kind:     global_buffer
      - .address_space:  global
        .offset:         96
        .size:           8
        .value_kind:     global_buffer
    .group_segment_fixed_size: 5096
    .kernarg_segment_align: 8
    .kernarg_segment_size: 104
    .language:       OpenCL C
    .language_version:
      - 2
      - 0
    .max_flat_workgroup_size: 182
    .name:           bluestein_single_back_len1274_dim1_half_op_CI_CI
    .private_segment_fixed_size: 0
    .sgpr_count:     32
    .sgpr_spill_count: 0
    .symbol:         bluestein_single_back_len1274_dim1_half_op_CI_CI.kd
    .uniform_work_group_size: 1
    .uses_dynamic_stack: false
    .vgpr_count:     210
    .vgpr_spill_count: 0
    .wavefront_size: 64
amdhsa.target:   amdgcn-amd-amdhsa--gfx906
amdhsa.version:
  - 1
  - 2
...

	.end_amdgpu_metadata
